;; amdgpu-corpus repo=ROCm/rocFFT kind=compiled arch=gfx950 opt=O3
	.text
	.amdgcn_target "amdgcn-amd-amdhsa--gfx950"
	.amdhsa_code_object_version 6
	.protected	bluestein_single_back_len1872_dim1_dp_op_CI_CI ; -- Begin function bluestein_single_back_len1872_dim1_dp_op_CI_CI
	.globl	bluestein_single_back_len1872_dim1_dp_op_CI_CI
	.p2align	8
	.type	bluestein_single_back_len1872_dim1_dp_op_CI_CI,@function
bluestein_single_back_len1872_dim1_dp_op_CI_CI: ; @bluestein_single_back_len1872_dim1_dp_op_CI_CI
; %bb.0:
	s_load_dwordx4 s[8:11], s[0:1], 0x28
	v_mul_u32_u24_e32 v1, 0x1a5, v0
	v_mov_b32_e32 v193, 0
	v_add_u32_sdwa v186, s2, v1 dst_sel:DWORD dst_unused:UNUSED_PAD src0_sel:DWORD src1_sel:WORD_1
	v_mov_b32_e32 v187, v193
	s_waitcnt lgkmcnt(0)
	v_cmp_gt_u64_e32 vcc, s[8:9], v[186:187]
	s_and_saveexec_b64 s[2:3], vcc
	s_cbranch_execz .LBB0_15
; %bb.1:
	s_load_dwordx2 s[12:13], s[0:1], 0x0
	s_load_dwordx2 s[8:9], s[0:1], 0x38
	s_movk_i32 s2, 0x9c
	v_mul_lo_u16_sdwa v1, v1, s2 dst_sel:DWORD dst_unused:UNUSED_PAD src0_sel:WORD_1 src1_sel:DWORD
	v_sub_u16_e32 v192, v0, v1
	s_movk_i32 s2, 0x90
	v_cmp_gt_u16_e64 s[2:3], s2, v192
	v_lshlrev_b32_e32 v196, 4, v192
	s_and_saveexec_b64 s[14:15], s[2:3]
	s_cbranch_execz .LBB0_3
; %bb.2:
	s_load_dwordx2 s[4:5], s[0:1], 0x18
	v_mov_b32_e32 v0, s10
	v_mov_b32_e32 v1, s11
	;; [unrolled: 1-line block ×4, first 2 shown]
	s_waitcnt lgkmcnt(0)
	s_load_dwordx4 s[4:7], s[4:5], 0x0
	v_lshl_add_u64 v[40:41], s[12:13], 0, v[196:197]
	s_waitcnt lgkmcnt(0)
	v_mad_u64_u32 v[2:3], s[10:11], s6, v186, 0
	v_mad_u64_u32 v[4:5], s[10:11], s4, v192, 0
	v_mov_b32_e32 v6, v3
	v_mov_b32_e32 v8, v5
	v_mad_u64_u32 v[6:7], s[6:7], s7, v186, v[6:7]
	v_mov_b32_e32 v3, v6
	v_mad_u64_u32 v[6:7], s[6:7], s5, v192, v[8:9]
	v_mov_b32_e32 v5, v6
	v_lshl_add_u64 v[0:1], v[2:3], 4, v[0:1]
	v_lshl_add_u64 v[8:9], v[4:5], 4, v[0:1]
	v_mad_u64_u32 v[20:21], s[6:7], s4, v100, v[8:9]
	s_mulk_i32 s5, 0x900
	v_add_u32_e32 v21, s5, v21
	global_load_dwordx4 v[0:3], v[8:9], off
	global_load_dwordx4 v[4:7], v196, s[12:13]
	v_mad_u64_u32 v[22:23], s[6:7], s4, v100, v[20:21]
	global_load_dwordx4 v[8:11], v196, s[12:13] offset:2304
	v_add_u32_e32 v23, s5, v23
	s_movk_i32 s6, 0x1000
	v_add_co_u32_e32 v28, vcc, s6, v40
	v_mad_u64_u32 v[36:37], s[6:7], s4, v100, v[22:23]
	global_load_dwordx4 v[16:19], v[20:21], off
	global_load_dwordx4 v[12:15], v[22:23], off
	v_add_u32_e32 v37, s5, v37
	v_addc_co_u32_e32 v29, vcc, 0, v41, vcc
	v_mad_u64_u32 v[38:39], s[6:7], s4, v100, v[36:37]
	global_load_dwordx4 v[20:23], v[28:29], off offset:512
	global_load_dwordx4 v[24:27], v[28:29], off offset:2816
	v_add_u32_e32 v39, s5, v39
	s_movk_i32 s6, 0x2000
	v_add_co_u32_e32 v50, vcc, s6, v40
	v_mad_u64_u32 v[52:53], s[6:7], s4, v100, v[38:39]
	global_load_dwordx4 v[32:35], v[36:37], off
	global_load_dwordx4 v[28:31], v[38:39], off
	v_add_u32_e32 v53, s5, v53
	v_mad_u64_u32 v[54:55], s[6:7], s4, v100, v[52:53]
	v_addc_co_u32_e32 v51, vcc, 0, v41, vcc
	global_load_dwordx4 v[36:39], v[52:53], off
	global_load_dwordx4 v[42:45], v[50:51], off offset:1024
	global_load_dwordx4 v[46:49], v[50:51], off offset:3328
	v_add_u32_e32 v55, s5, v55
	s_movk_i32 s6, 0x3000
	v_add_co_u32_e32 v66, vcc, s6, v40
	v_mad_u64_u32 v[68:69], s[6:7], s4, v100, v[54:55]
	v_add_u32_e32 v69, s5, v69
	global_load_dwordx4 v[50:53], v[54:55], off
	v_mad_u64_u32 v[70:71], s[6:7], s4, v100, v[68:69]
	v_addc_co_u32_e32 v67, vcc, 0, v41, vcc
	global_load_dwordx4 v[54:57], v[68:69], off
	global_load_dwordx4 v[58:61], v[66:67], off offset:1536
	global_load_dwordx4 v[62:65], v[66:67], off offset:3840
	v_add_u32_e32 v71, s5, v71
	s_movk_i32 s6, 0x4000
	v_add_co_u32_e32 v82, vcc, s6, v40
	v_mad_u64_u32 v[84:85], s[6:7], s4, v100, v[70:71]
	s_nop 0
	v_addc_co_u32_e32 v83, vcc, 0, v41, vcc
	v_add_u32_e32 v85, s5, v85
	s_movk_i32 s6, 0x5000
	global_load_dwordx4 v[66:69], v[70:71], off
	v_add_co_u32_e32 v90, vcc, s6, v40
	v_mad_u64_u32 v[92:93], s[6:7], s4, v100, v[84:85]
	global_load_dwordx4 v[70:73], v[84:85], off
	v_addc_co_u32_e32 v91, vcc, 0, v41, vcc
	global_load_dwordx4 v[74:77], v[82:83], off offset:2048
	global_load_dwordx4 v[78:81], v[90:91], off offset:256
	v_add_u32_e32 v93, s5, v93
	v_mad_u64_u32 v[98:99], s[6:7], s4, v100, v[92:93]
	s_movk_i32 s6, 0x6000
	global_load_dwordx4 v[82:85], v[92:93], off
	global_load_dwordx4 v[86:89], v[90:91], off offset:2560
	v_add_co_u32_e32 v40, vcc, s6, v40
	v_add_u32_e32 v99, s5, v99
	s_nop 0
	v_addc_co_u32_e32 v41, vcc, 0, v41, vcc
	global_load_dwordx4 v[90:93], v[98:99], off
	global_load_dwordx4 v[94:97], v[40:41], off offset:768
	v_mad_u64_u32 v[106:107], s[6:7], s4, v100, v[98:99]
	v_add_u32_e32 v107, s5, v107
	global_load_dwordx4 v[98:101], v[106:107], off
	global_load_dwordx4 v[102:105], v[40:41], off offset:3072
	s_waitcnt vmcnt(24)
	v_mul_f64 v[106:107], v[2:3], v[6:7]
	v_fmac_f64_e32 v[106:107], v[0:1], v[4:5]
	v_mul_f64 v[0:1], v[0:1], v[6:7]
	v_fma_f64 v[108:109], v[2:3], v[4:5], -v[0:1]
	ds_write_b128 v196, v[106:109]
	s_waitcnt vmcnt(22)
	v_mul_f64 v[0:1], v[18:19], v[10:11]
	v_mul_f64 v[2:3], v[16:17], v[10:11]
	v_fmac_f64_e32 v[0:1], v[16:17], v[8:9]
	v_fma_f64 v[2:3], v[18:19], v[8:9], -v[2:3]
	ds_write_b128 v196, v[0:3] offset:2304
	s_waitcnt vmcnt(20)
	v_mul_f64 v[0:1], v[14:15], v[22:23]
	v_mul_f64 v[2:3], v[12:13], v[22:23]
	v_fmac_f64_e32 v[0:1], v[12:13], v[20:21]
	v_fma_f64 v[2:3], v[14:15], v[20:21], -v[2:3]
	ds_write_b128 v196, v[0:3] offset:4608
	;; [unrolled: 6-line block ×12, first 2 shown]
.LBB0_3:
	s_or_b64 exec, exec, s[14:15]
	s_load_dwordx2 s[4:5], s[0:1], 0x20
	s_load_dwordx2 s[10:11], s[0:1], 0x8
	s_waitcnt lgkmcnt(0)
	s_barrier
	s_waitcnt lgkmcnt(0)
                                        ; implicit-def: $vgpr4_vgpr5
                                        ; implicit-def: $vgpr8_vgpr9
                                        ; implicit-def: $vgpr20_vgpr21
                                        ; implicit-def: $vgpr28_vgpr29
                                        ; implicit-def: $vgpr36_vgpr37
                                        ; implicit-def: $vgpr48_vgpr49
                                        ; implicit-def: $vgpr52_vgpr53
                                        ; implicit-def: $vgpr44_vgpr45
                                        ; implicit-def: $vgpr40_vgpr41
                                        ; implicit-def: $vgpr32_vgpr33
                                        ; implicit-def: $vgpr24_vgpr25
                                        ; implicit-def: $vgpr16_vgpr17
                                        ; implicit-def: $vgpr12_vgpr13
	s_and_saveexec_b64 s[0:1], s[2:3]
	s_cbranch_execz .LBB0_5
; %bb.4:
	ds_read_b128 v[4:7], v196
	ds_read_b128 v[12:15], v196 offset:2304
	ds_read_b128 v[16:19], v196 offset:4608
	ds_read_b128 v[8:11], v196 offset:6912
	ds_read_b128 v[20:23], v196 offset:9216
	ds_read_b128 v[24:27], v196 offset:11520
	ds_read_b128 v[32:35], v196 offset:13824
	ds_read_b128 v[28:31], v196 offset:16128
	ds_read_b128 v[36:39], v196 offset:18432
	ds_read_b128 v[40:43], v196 offset:20736
	ds_read_b128 v[44:47], v196 offset:23040
	ds_read_b128 v[48:51], v196 offset:25344
	ds_read_b128 v[52:55], v196 offset:27648
.LBB0_5:
	s_or_b64 exec, exec, s[0:1]
	s_mov_b32 s16, 0x4267c47c
	s_waitcnt lgkmcnt(0)
	v_add_f64 v[116:117], v[14:15], -v[54:55]
	s_mov_b32 s6, 0xe00740e9
	s_mov_b32 s17, 0xbfddbe06
	;; [unrolled: 1-line block ×3, first 2 shown]
	v_add_f64 v[86:87], v[52:53], v[12:13]
	v_add_f64 v[100:101], v[12:13], -v[52:53]
	s_mov_b32 s7, 0x3fec55a7
	v_mul_f64 v[84:85], v[116:117], s[16:17]
	v_add_f64 v[128:129], v[18:19], -v[50:51]
	s_mov_b32 s14, 0x1ea71119
	s_mov_b32 s21, 0xbfea55e2
	v_add_f64 v[96:97], v[54:55], v[14:15]
	v_mul_f64 v[88:89], v[100:101], s[16:17]
	v_fma_f64 v[0:1], s[6:7], v[86:87], v[84:85]
	v_add_f64 v[92:93], v[48:49], v[16:17]
	v_add_f64 v[110:111], v[16:17], -v[48:49]
	s_mov_b32 s15, 0x3fe22d96
	v_mul_f64 v[90:91], v[128:129], s[20:21]
	s_mov_b32 s30, 0x66966769
	v_add_f64 v[0:1], v[4:5], v[0:1]
	v_fma_f64 v[2:3], v[96:97], s[6:7], -v[88:89]
	v_add_f64 v[102:103], v[50:51], v[18:19]
	v_mul_f64 v[94:95], v[110:111], s[20:21]
	v_fma_f64 v[56:57], s[14:15], v[92:93], v[90:91]
	v_add_f64 v[138:139], v[10:11], -v[46:47]
	s_mov_b32 s18, 0xebaa3ed8
	s_mov_b32 s31, 0xbfefc445
	v_add_f64 v[2:3], v[6:7], v[2:3]
	v_add_f64 v[0:1], v[56:57], v[0:1]
	v_fma_f64 v[56:57], v[102:103], s[14:15], -v[94:95]
	v_add_f64 v[104:105], v[8:9], v[44:45]
	v_add_f64 v[124:125], v[8:9], -v[44:45]
	s_mov_b32 s19, 0x3fbedb7d
	v_mul_f64 v[98:99], v[138:139], s[30:31]
	s_mov_b32 s26, 0x2ef20147
	v_add_f64 v[2:3], v[56:57], v[2:3]
	v_add_f64 v[112:113], v[10:11], v[46:47]
	v_mul_f64 v[106:107], v[124:125], s[30:31]
	v_fma_f64 v[56:57], s[18:19], v[104:105], v[98:99]
	v_add_f64 v[144:145], v[22:23], -v[42:43]
	s_mov_b32 s22, 0xb2365da1
	s_mov_b32 s27, 0xbfedeba7
	v_add_f64 v[0:1], v[56:57], v[0:1]
	v_fma_f64 v[56:57], v[112:113], s[18:19], -v[106:107]
	v_add_f64 v[120:121], v[20:21], v[40:41]
	v_add_f64 v[136:137], v[20:21], -v[40:41]
	s_mov_b32 s23, 0xbfd6b1d8
	v_mul_f64 v[108:109], v[144:145], s[26:27]
	s_mov_b32 s36, 0x24c2f84
	v_add_f64 v[2:3], v[56:57], v[2:3]
	v_add_f64 v[122:123], v[22:23], v[42:43]
	v_mul_f64 v[114:115], v[136:137], s[26:27]
	v_fma_f64 v[56:57], s[22:23], v[120:121], v[108:109]
	v_add_f64 v[150:151], v[26:27], -v[38:39]
	s_mov_b32 s24, 0xd0032e0c
	s_mov_b32 s37, 0xbfe5384d
	;; [unrolled: 14-line block ×3, first 2 shown]
	v_add_f64 v[0:1], v[56:57], v[0:1]
	v_fma_f64 v[56:57], v[132:133], s[24:25], -v[126:127]
	v_add_f64 v[140:141], v[28:29], v[32:33]
	s_mov_b32 s29, 0xbfef11f4
	v_mul_f64 v[134:135], v[152:153], s[34:35]
	v_add_f64 v[154:155], v[32:33], -v[28:29]
	v_add_f64 v[2:3], v[56:57], v[2:3]
	v_fma_f64 v[56:57], s[28:29], v[140:141], v[134:135]
	v_add_f64 v[148:149], v[30:31], v[34:35]
	v_mul_f64 v[142:143], v[154:155], s[34:35]
	v_add_f64 v[188:189], v[56:57], v[0:1]
	v_fma_f64 v[0:1], v[148:149], s[28:29], -v[142:143]
	v_add_f64 v[190:191], v[0:1], v[2:3]
	v_mul_lo_u16_e32 v187, 13, v192
	s_barrier
	s_and_saveexec_b64 s[0:1], s[2:3]
	s_cbranch_execz .LBB0_7
; %bb.6:
	v_mul_f64 v[72:73], v[96:97], s[28:29]
	s_mov_b32 s47, 0x3fcea1e5
	s_mov_b32 s46, s34
	v_mul_f64 v[68:69], v[102:103], s[6:7]
	v_fma_f64 v[74:75], s[46:47], v[100:101], v[72:73]
	v_mul_f64 v[64:65], v[112:113], s[24:25]
	s_mov_b32 s39, 0x3fe5384d
	s_mov_b32 s38, s36
	v_fma_f64 v[70:71], s[16:17], v[110:111], v[68:69]
	v_add_f64 v[74:75], v[6:7], v[74:75]
	s_mov_b32 s43, 0x3fddbe06
	s_mov_b32 s42, s16
	v_fmac_f64_e32 v[72:73], s[34:35], v[100:101]
	v_mul_f64 v[62:63], v[122:123], s[14:15]
	v_fma_f64 v[66:67], s[38:39], v[124:125], v[64:65]
	v_add_f64 v[70:71], v[70:71], v[74:75]
	v_mul_f64 v[80:81], v[116:117], s[34:35]
	v_fmac_f64_e32 v[68:69], s[42:43], v[110:111]
	v_add_f64 v[72:73], v[6:7], v[72:73]
	v_mul_f64 v[60:61], v[132:133], s[22:23]
	s_mov_b32 s45, 0x3fedeba7
	s_mov_b32 s44, s26
	v_fma_f64 v[58:59], s[20:21], v[136:137], v[62:63]
	v_add_f64 v[66:67], v[66:67], v[70:71]
	s_mov_b32 s49, 0x3fea55e2
	s_mov_b32 s48, s20
	v_mul_f64 v[76:77], v[128:129], s[42:43]
	v_fma_f64 v[82:83], s[28:29], v[86:87], v[80:81]
	v_fmac_f64_e32 v[64:65], s[36:37], v[124:125]
	v_add_f64 v[68:69], v[68:69], v[72:73]
	v_mul_f64 v[0:1], v[148:149], s[18:19]
	v_fma_f64 v[56:57], s[44:45], v[146:147], v[60:61]
	v_add_f64 v[58:59], v[58:59], v[66:67]
	v_mul_f64 v[74:75], v[138:139], s[36:37]
	v_fma_f64 v[78:79], s[6:7], v[92:93], v[76:77]
	v_add_f64 v[82:83], v[4:5], v[82:83]
	v_fmac_f64_e32 v[62:63], s[48:49], v[136:137]
	v_add_f64 v[64:65], v[64:65], v[68:69]
	v_fma_f64 v[2:3], s[30:31], v[154:155], v[0:1]
	v_add_f64 v[56:57], v[56:57], v[58:59]
	s_mov_b32 s41, 0x3fefc445
	s_mov_b32 s40, s30
	v_mul_f64 v[70:71], v[144:145], s[48:49]
	v_add_f64 v[78:79], v[78:79], v[82:83]
	v_fma_f64 v[82:83], s[24:25], v[104:105], v[74:75]
	v_fmac_f64_e32 v[60:61], s[26:27], v[146:147]
	v_add_f64 v[62:63], v[62:63], v[64:65]
	v_add_f64 v[58:59], v[2:3], v[56:57]
	v_mul_f64 v[2:3], v[152:153], s[40:41]
	v_mul_f64 v[66:67], v[150:151], s[26:27]
	v_add_f64 v[78:79], v[82:83], v[78:79]
	v_fma_f64 v[82:83], s[14:15], v[120:121], v[70:71]
	v_fmac_f64_e32 v[0:1], s[40:41], v[154:155]
	v_add_f64 v[60:61], v[60:61], v[62:63]
	v_fma_f64 v[68:69], v[86:87], s[28:29], -v[80:81]
	v_fma_f64 v[56:57], s[18:19], v[140:141], v[2:3]
	v_add_f64 v[78:79], v[82:83], v[78:79]
	v_fma_f64 v[82:83], s[22:23], v[130:131], v[66:67]
	v_add_f64 v[62:63], v[0:1], v[60:61]
	v_fma_f64 v[0:1], v[140:141], s[18:19], -v[2:3]
	v_fma_f64 v[2:3], v[130:131], s[22:23], -v[66:67]
	;; [unrolled: 1-line block ×3, first 2 shown]
	v_add_f64 v[68:69], v[4:5], v[68:69]
	v_add_f64 v[78:79], v[82:83], v[78:79]
	v_fma_f64 v[64:65], v[104:105], s[24:25], -v[74:75]
	v_add_f64 v[66:67], v[66:67], v[68:69]
	v_mul_f64 v[76:77], v[96:97], s[24:25]
	v_add_f64 v[56:57], v[56:57], v[78:79]
	v_fma_f64 v[60:61], v[120:121], s[14:15], -v[70:71]
	v_add_f64 v[64:65], v[64:65], v[66:67]
	v_mul_f64 v[72:73], v[102:103], s[18:19]
	v_fma_f64 v[78:79], s[38:39], v[100:101], v[76:77]
	v_add_f64 v[60:61], v[60:61], v[64:65]
	v_mul_f64 v[70:71], v[112:113], s[14:15]
	v_fma_f64 v[74:75], s[30:31], v[110:111], v[72:73]
	v_add_f64 v[78:79], v[6:7], v[78:79]
	v_add_f64 v[2:3], v[2:3], v[60:61]
	v_mul_f64 v[68:69], v[122:123], s[28:29]
	v_fma_f64 v[66:67], s[48:49], v[124:125], v[70:71]
	v_add_f64 v[74:75], v[74:75], v[78:79]
	v_add_f64 v[60:61], v[0:1], v[2:3]
	v_mul_f64 v[0:1], v[132:133], s[6:7]
	v_fma_f64 v[64:65], s[34:35], v[136:137], v[68:69]
	v_add_f64 v[66:67], v[66:67], v[74:75]
	v_mul_f64 v[156:157], v[116:117], s[36:37]
	v_fma_f64 v[2:3], s[16:17], v[146:147], v[0:1]
	v_add_f64 v[64:65], v[64:65], v[66:67]
	v_mul_f64 v[82:83], v[128:129], s[40:41]
	v_fma_f64 v[66:67], s[24:25], v[86:87], v[156:157]
	v_add_f64 v[2:3], v[2:3], v[64:65]
	;; [unrolled: 3-line block ×3, first 2 shown]
	v_fmac_f64_e32 v[76:77], s[36:37], v[100:101]
	v_mul_f64 v[78:79], v[144:145], s[46:47]
	v_add_f64 v[64:65], v[64:65], v[66:67]
	v_fma_f64 v[66:67], s[14:15], v[104:105], v[80:81]
	v_fmac_f64_e32 v[72:73], s[40:41], v[110:111]
	v_add_f64 v[76:77], v[6:7], v[76:77]
	v_mul_f64 v[74:75], v[150:151], s[42:43]
	v_add_f64 v[64:65], v[66:67], v[64:65]
	v_fma_f64 v[66:67], s[28:29], v[120:121], v[78:79]
	v_add_f64 v[72:73], v[72:73], v[76:77]
	v_fmac_f64_e32 v[70:71], s[20:21], v[124:125]
	v_add_f64 v[64:65], v[66:67], v[64:65]
	v_fma_f64 v[66:67], s[6:7], v[130:131], v[74:75]
	v_mul_f64 v[158:159], v[148:149], s[22:23]
	v_fmac_f64_e32 v[68:69], s[46:47], v[136:137]
	v_add_f64 v[70:71], v[70:71], v[72:73]
	v_add_f64 v[64:65], v[66:67], v[64:65]
	v_fma_f64 v[66:67], s[44:45], v[154:155], v[158:159]
	v_fmac_f64_e32 v[0:1], s[42:43], v[146:147]
	v_add_f64 v[68:69], v[68:69], v[70:71]
	v_add_f64 v[66:67], v[66:67], v[2:3]
	v_mul_f64 v[2:3], v[152:153], s[26:27]
	v_fmac_f64_e32 v[158:159], s[26:27], v[154:155]
	v_add_f64 v[0:1], v[0:1], v[68:69]
	v_fma_f64 v[76:77], v[86:87], s[24:25], -v[156:157]
	v_fma_f64 v[160:161], s[22:23], v[140:141], v[2:3]
	v_add_f64 v[70:71], v[158:159], v[0:1]
	v_fma_f64 v[0:1], v[140:141], s[22:23], -v[2:3]
	v_fma_f64 v[2:3], v[130:131], s[6:7], -v[74:75]
	v_fma_f64 v[74:75], v[92:93], s[18:19], -v[82:83]
	v_add_f64 v[76:77], v[4:5], v[76:77]
	v_fma_f64 v[72:73], v[104:105], s[14:15], -v[80:81]
	v_add_f64 v[74:75], v[74:75], v[76:77]
	v_mul_f64 v[82:83], v[96:97], s[22:23]
	v_fma_f64 v[68:69], v[120:121], s[28:29], -v[78:79]
	v_add_f64 v[72:73], v[72:73], v[74:75]
	v_mul_f64 v[80:81], v[102:103], s[24:25]
	v_fma_f64 v[156:157], s[44:45], v[100:101], v[82:83]
	v_add_f64 v[68:69], v[68:69], v[72:73]
	v_mul_f64 v[78:79], v[112:113], s[6:7]
	v_fma_f64 v[74:75], s[36:37], v[110:111], v[80:81]
	v_add_f64 v[156:157], v[6:7], v[156:157]
	v_add_f64 v[2:3], v[2:3], v[68:69]
	v_mul_f64 v[76:77], v[122:123], s[18:19]
	v_add_f64 v[74:75], v[74:75], v[156:157]
	v_fma_f64 v[156:157], s[16:17], v[124:125], v[78:79]
	v_add_f64 v[68:69], v[0:1], v[2:3]
	v_mul_f64 v[0:1], v[132:133], s[28:29]
	v_fma_f64 v[72:73], s[40:41], v[136:137], v[76:77]
	v_add_f64 v[74:75], v[156:157], v[74:75]
	v_fma_f64 v[2:3], s[34:35], v[146:147], v[0:1]
	v_add_f64 v[72:73], v[72:73], v[74:75]
	v_mul_f64 v[158:159], v[116:117], s[26:27]
	v_fmac_f64_e32 v[82:83], s[26:27], v[100:101]
	v_add_f64 v[2:3], v[2:3], v[72:73]
	v_mul_f64 v[156:157], v[128:129], s[38:39]
	v_fma_f64 v[72:73], s[22:23], v[86:87], v[158:159]
	v_fmac_f64_e32 v[80:81], s[38:39], v[110:111]
	v_add_f64 v[82:83], v[6:7], v[82:83]
	v_add_f64 v[64:65], v[160:161], v[64:65]
	;; [unrolled: 1-line block ×3, first 2 shown]
	v_fma_f64 v[74:75], s[24:25], v[92:93], v[156:157]
	v_mul_f64 v[160:161], v[138:139], s[42:43]
	v_add_f64 v[80:81], v[80:81], v[82:83]
	v_fmac_f64_e32 v[78:79], s[42:43], v[124:125]
	v_add_f64 v[72:73], v[74:75], v[72:73]
	v_fma_f64 v[74:75], s[6:7], v[104:105], v[160:161]
	v_mul_f64 v[162:163], v[144:145], s[30:31]
	v_add_f64 v[78:79], v[78:79], v[80:81]
	v_fmac_f64_e32 v[76:77], s[30:31], v[136:137]
	v_add_f64 v[72:73], v[74:75], v[72:73]
	v_fma_f64 v[74:75], s[18:19], v[120:121], v[162:163]
	v_mul_f64 v[164:165], v[150:151], s[46:47]
	v_add_f64 v[76:77], v[76:77], v[78:79]
	v_fmac_f64_e32 v[0:1], s[46:47], v[146:147]
	v_fma_f64 v[78:79], v[86:87], s[22:23], -v[158:159]
	v_add_f64 v[72:73], v[74:75], v[72:73]
	v_fma_f64 v[74:75], s[28:29], v[130:131], v[164:165]
	v_mul_f64 v[166:167], v[148:149], s[14:15]
	v_add_f64 v[0:1], v[0:1], v[76:77]
	v_fma_f64 v[76:77], v[92:93], s[24:25], -v[156:157]
	v_add_f64 v[78:79], v[4:5], v[78:79]
	v_add_f64 v[72:73], v[74:75], v[72:73]
	v_fma_f64 v[74:75], s[20:21], v[154:155], v[166:167]
	v_add_f64 v[76:77], v[76:77], v[78:79]
	v_fma_f64 v[82:83], v[104:105], s[6:7], -v[160:161]
	v_add_f64 v[74:75], v[74:75], v[2:3]
	v_mul_f64 v[2:3], v[152:153], s[48:49]
	v_fmac_f64_e32 v[166:167], s[48:49], v[154:155]
	v_fma_f64 v[80:81], v[120:121], s[18:19], -v[162:163]
	v_add_f64 v[76:77], v[82:83], v[76:77]
	v_fma_f64 v[168:169], s[14:15], v[140:141], v[2:3]
	v_add_f64 v[78:79], v[166:167], v[0:1]
	v_fma_f64 v[0:1], v[140:141], s[14:15], -v[2:3]
	v_fma_f64 v[2:3], v[130:131], s[28:29], -v[164:165]
	v_add_f64 v[76:77], v[80:81], v[76:77]
	v_add_f64 v[2:3], v[2:3], v[76:77]
	v_mul_f64 v[156:157], v[96:97], s[18:19]
	v_add_f64 v[76:77], v[0:1], v[2:3]
	v_mul_f64 v[2:3], v[102:103], s[28:29]
	v_fma_f64 v[82:83], s[40:41], v[100:101], v[156:157]
	v_mul_f64 v[0:1], v[112:113], s[22:23]
	v_fma_f64 v[80:81], s[46:47], v[110:111], v[2:3]
	v_add_f64 v[82:83], v[6:7], v[82:83]
	v_add_f64 v[80:81], v[80:81], v[82:83]
	v_fma_f64 v[82:83], s[26:27], v[124:125], v[0:1]
	v_mul_f64 v[158:159], v[122:123], s[6:7]
	v_add_f64 v[80:81], v[82:83], v[80:81]
	v_fma_f64 v[82:83], s[16:17], v[136:137], v[158:159]
	v_mul_f64 v[160:161], v[132:133], s[14:15]
	;; [unrolled: 3-line block ×4, first 2 shown]
	v_add_f64 v[82:83], v[4:5], v[82:83]
	v_fma_f64 v[166:167], s[28:29], v[92:93], v[164:165]
	v_add_f64 v[82:83], v[166:167], v[82:83]
	v_mul_f64 v[166:167], v[138:139], s[44:45]
	v_fmac_f64_e32 v[156:157], s[30:31], v[100:101]
	v_add_f64 v[72:73], v[168:169], v[72:73]
	v_fma_f64 v[168:169], s[22:23], v[104:105], v[166:167]
	v_fmac_f64_e32 v[2:3], s[34:35], v[110:111]
	v_add_f64 v[156:157], v[6:7], v[156:157]
	v_add_f64 v[82:83], v[168:169], v[82:83]
	v_mul_f64 v[168:169], v[144:145], s[42:43]
	v_add_f64 v[2:3], v[2:3], v[156:157]
	v_fmac_f64_e32 v[0:1], s[44:45], v[124:125]
	v_fma_f64 v[156:157], v[86:87], s[18:19], -v[162:163]
	v_fma_f64 v[170:171], s[6:7], v[120:121], v[168:169]
	v_add_f64 v[0:1], v[0:1], v[2:3]
	v_fma_f64 v[2:3], v[92:93], s[28:29], -v[164:165]
	v_add_f64 v[156:157], v[4:5], v[156:157]
	v_add_f64 v[82:83], v[170:171], v[82:83]
	v_mul_f64 v[170:171], v[150:151], s[20:21]
	v_fmac_f64_e32 v[158:159], s[42:43], v[136:137]
	v_add_f64 v[2:3], v[2:3], v[156:157]
	v_fma_f64 v[156:157], v[104:105], s[22:23], -v[166:167]
	v_fma_f64 v[172:173], s[14:15], v[130:131], v[170:171]
	v_mul_f64 v[174:175], v[148:149], s[24:25]
	v_add_f64 v[0:1], v[158:159], v[0:1]
	v_fmac_f64_e32 v[160:161], s[20:21], v[146:147]
	v_add_f64 v[2:3], v[156:157], v[2:3]
	v_fma_f64 v[156:157], v[120:121], s[6:7], -v[168:169]
	v_add_f64 v[172:173], v[172:173], v[82:83]
	v_fma_f64 v[82:83], s[38:39], v[154:155], v[174:175]
	v_mul_f64 v[176:177], v[152:153], s[36:37]
	v_add_f64 v[0:1], v[160:161], v[0:1]
	v_add_f64 v[2:3], v[156:157], v[2:3]
	v_fma_f64 v[156:157], v[130:131], s[14:15], -v[170:171]
	v_fmac_f64_e32 v[174:175], s[36:37], v[154:155]
	v_add_f64 v[2:3], v[156:157], v[2:3]
	v_add_f64 v[158:159], v[174:175], v[0:1]
	v_fma_f64 v[0:1], v[140:141], s[24:25], -v[176:177]
	v_add_f64 v[156:157], v[0:1], v[2:3]
	v_mul_f64 v[0:1], v[96:97], s[14:15]
	v_fma_f64 v[2:3], s[48:49], v[100:101], v[0:1]
	v_mul_f64 v[164:165], v[102:103], s[22:23]
	v_add_f64 v[2:3], v[6:7], v[2:3]
	v_fma_f64 v[160:161], s[44:45], v[110:111], v[164:165]
	v_mul_f64 v[166:167], v[112:113], s[28:29]
	v_add_f64 v[2:3], v[160:161], v[2:3]
	;; [unrolled: 3-line block ×5, first 2 shown]
	v_mul_f64 v[128:129], v[128:129], s[26:27]
	v_fma_f64 v[160:161], s[14:15], v[86:87], v[116:117]
	v_fmac_f64_e32 v[0:1], s[20:21], v[100:101]
	v_add_f64 v[160:161], v[4:5], v[160:161]
	v_fma_f64 v[162:163], s[22:23], v[92:93], v[128:129]
	v_mul_f64 v[138:139], v[138:139], s[34:35]
	v_fmac_f64_e32 v[164:165], s[26:27], v[110:111]
	v_add_f64 v[0:1], v[6:7], v[0:1]
	v_add_f64 v[160:161], v[162:163], v[160:161]
	v_fma_f64 v[162:163], s[28:29], v[104:105], v[138:139]
	v_mul_f64 v[144:145], v[144:145], s[38:39]
	v_fmac_f64_e32 v[166:167], s[34:35], v[124:125]
	v_add_f64 v[0:1], v[164:165], v[0:1]
	v_add_f64 v[82:83], v[82:83], v[80:81]
	v_fma_f64 v[80:81], s[24:25], v[140:141], v[176:177]
	v_add_f64 v[160:161], v[162:163], v[160:161]
	v_fma_f64 v[162:163], s[24:25], v[120:121], v[144:145]
	v_mul_f64 v[150:151], v[150:151], s[40:41]
	v_fmac_f64_e32 v[168:169], s[38:39], v[136:137]
	v_add_f64 v[0:1], v[166:167], v[0:1]
	v_add_f64 v[80:81], v[80:81], v[172:173]
	;; [unrolled: 1-line block ×3, first 2 shown]
	v_fma_f64 v[162:163], s[18:19], v[130:131], v[150:151]
	v_mul_f64 v[172:173], v[148:149], s[6:7]
	v_fmac_f64_e32 v[170:171], s[40:41], v[146:147]
	v_mul_f64 v[110:111], v[86:87], s[6:7]
	v_add_f64 v[0:1], v[168:169], v[0:1]
	v_fma_f64 v[86:87], v[86:87], s[14:15], -v[116:117]
	v_add_f64 v[160:161], v[162:163], v[160:161]
	v_fma_f64 v[162:163], s[16:17], v[154:155], v[172:173]
	v_fmac_f64_e32 v[172:173], s[42:43], v[154:155]
	v_mul_f64 v[96:97], v[96:97], s[6:7]
	v_mul_f64 v[124:125], v[92:93], s[14:15]
	v_add_f64 v[0:1], v[170:171], v[0:1]
	v_fma_f64 v[92:93], v[92:93], s[22:23], -v[128:129]
	v_add_f64 v[86:87], v[4:5], v[86:87]
	v_mul_f64 v[136:137], v[102:103], s[14:15]
	v_add_f64 v[102:103], v[172:173], v[0:1]
	v_fma_f64 v[0:1], v[104:105], s[28:29], -v[138:139]
	v_add_f64 v[86:87], v[92:93], v[86:87]
	v_add_f64 v[88:89], v[88:89], v[96:97]
	v_mul_f64 v[112:113], v[112:113], s[18:19]
	v_fma_f64 v[100:101], v[120:121], s[24:25], -v[144:145]
	v_add_f64 v[0:1], v[0:1], v[86:87]
	v_add_f64 v[94:95], v[94:95], v[136:137]
	;; [unrolled: 1-line block ×4, first 2 shown]
	v_mul_f64 v[2:3], v[152:153], s[42:43]
	v_mul_f64 v[122:123], v[122:123], s[22:23]
	v_fma_f64 v[144:145], v[130:131], s[18:19], -v[150:151]
	v_add_f64 v[0:1], v[100:101], v[0:1]
	v_add_f64 v[92:93], v[106:107], v[112:113]
	;; [unrolled: 1-line block ×3, first 2 shown]
	v_add_f64 v[84:85], v[110:111], -v[84:85]
	v_fma_f64 v[152:153], s[6:7], v[140:141], v[2:3]
	v_mul_f64 v[146:147], v[104:105], s[18:19]
	v_mul_f64 v[132:133], v[132:133], s[24:25]
	v_fma_f64 v[2:3], v[140:141], s[6:7], -v[2:3]
	v_add_f64 v[0:1], v[144:145], v[0:1]
	v_add_f64 v[86:87], v[114:115], v[122:123]
	;; [unrolled: 1-line block ×3, first 2 shown]
	v_add_f64 v[90:91], v[124:125], -v[90:91]
	v_add_f64 v[84:85], v[4:5], v[84:85]
	v_mul_f64 v[120:121], v[120:121], s[22:23]
	v_mul_f64 v[148:149], v[148:149], s[28:29]
	v_add_f64 v[100:101], v[2:3], v[0:1]
	v_add_f64 v[2:3], v[126:127], v[132:133]
	;; [unrolled: 1-line block ×3, first 2 shown]
	v_add_f64 v[92:93], v[146:147], -v[98:99]
	v_add_f64 v[84:85], v[90:91], v[84:85]
	v_mul_f64 v[130:131], v[130:131], s[24:25]
	v_add_f64 v[0:1], v[142:143], v[148:149]
	v_add_f64 v[2:3], v[2:3], v[86:87]
	v_add_f64 v[88:89], v[120:121], -v[108:109]
	v_add_f64 v[84:85], v[92:93], v[84:85]
	v_mul_f64 v[140:141], v[140:141], s[28:29]
	v_add_f64 v[86:87], v[0:1], v[2:3]
	v_add_f64 v[2:3], v[130:131], -v[118:119]
	v_add_f64 v[84:85], v[88:89], v[84:85]
	v_add_f64 v[0:1], v[140:141], -v[134:135]
	v_add_f64 v[2:3], v[2:3], v[84:85]
	v_add_f64 v[84:85], v[0:1], v[2:3]
	;; [unrolled: 1-line block ×26, first 2 shown]
	v_lshlrev_b32_e32 v0, 4, v187
	v_add_f64 v[160:161], v[152:153], v[160:161]
	ds_write_b128 v0, v[4:7]
	ds_write_b128 v0, v[84:87] offset:16
	ds_write_b128 v0, v[100:103] offset:32
	;; [unrolled: 1-line block ×12, first 2 shown]
.LBB0_7:
	s_or_b64 exec, exec, s[0:1]
	s_mov_b64 s[0:1], 0x9c
	v_lshl_add_u64 v[44:45], v[192:193], 0, s[0:1]
	s_mov_b64 s[0:1], 0x138
	v_lshl_add_u64 v[60:61], v[192:193], 0, s[0:1]
	;; [unrolled: 2-line block ×3, first 2 shown]
	s_movk_i32 s0, 0x4f
	v_mul_lo_u16_sdwa v1, v192, s0 dst_sel:DWORD dst_unused:UNUSED_PAD src0_sel:BYTE_0 src1_sel:DWORD
	v_lshrrev_b16_e32 v4, 10, v1
	v_mul_lo_u16_e32 v1, 13, v4
	v_sub_u16_e32 v1, v192, v1
	v_and_b32_e32 v5, 0xff, v1
	v_lshlrev_b32_e32 v1, 5, v5
	s_movk_i32 s0, 0x4ec5
	s_load_dwordx4 s[4:7], s[4:5], 0x0
	s_waitcnt lgkmcnt(0)
	s_barrier
	global_load_dwordx4 v[16:19], v1, s[10:11] offset:16
	global_load_dwordx4 v[12:15], v1, s[10:11]
	v_mul_u32_u24_sdwa v1, v44, s0 dst_sel:DWORD dst_unused:UNUSED_PAD src0_sel:WORD_0 src1_sel:DWORD
	v_lshrrev_b32_e32 v6, 18, v1
	v_mul_lo_u16_e32 v1, 13, v6
	v_sub_u16_e32 v7, v44, v1
	v_lshlrev_b16_e32 v1, 1, v7
	v_lshlrev_b32_e32 v1, 4, v1
	global_load_dwordx4 v[24:27], v1, s[10:11] offset:16
	global_load_dwordx4 v[20:23], v1, s[10:11]
	v_mul_u32_u24_sdwa v1, v60, s0 dst_sel:DWORD dst_unused:UNUSED_PAD src0_sel:WORD_0 src1_sel:DWORD
	v_lshrrev_b32_e32 v8, 18, v1
	v_mul_lo_u16_e32 v1, 13, v8
	v_sub_u16_e32 v9, v60, v1
	v_lshlrev_b16_e32 v1, 1, v9
	v_lshlrev_b32_e32 v1, 4, v1
	;; [unrolled: 8-line block ×3, first 2 shown]
	global_load_dwordx4 v[202:205], v0, s[10:11]
	global_load_dwordx4 v[198:201], v0, s[10:11] offset:16
	v_mov_b32_e32 v0, 4
	v_lshlrev_b32_sdwa v193, v0, v192 dst_sel:DWORD dst_unused:UNUSED_PAD src0_sel:DWORD src1_sel:WORD_0
	ds_read_b128 v[36:39], v193
	ds_read_b128 v[40:43], v193 offset:2496
	ds_read_b128 v[46:49], v193 offset:9984
	;; [unrolled: 1-line block ×11, first 2 shown]
	s_mov_b32 s14, 0xe8584caa
	s_mov_b32 s15, 0x3febb67a
	;; [unrolled: 1-line block ×4, first 2 shown]
	s_movk_i32 s16, 0xa5
	v_mov_b32_e32 v165, 0
	s_waitcnt lgkmcnt(0)
	s_barrier
	v_lshlrev_b32_e32 v246, 4, v192
	s_waitcnt vmcnt(7)
	v_mul_f64 v[58:59], v[56:57], v[18:19]
	s_waitcnt vmcnt(6)
	v_mul_f64 v[0:1], v[48:49], v[14:15]
	v_mul_f64 v[2:3], v[46:47], v[14:15]
	;; [unrolled: 1-line block ×3, first 2 shown]
	v_fma_f64 v[0:1], v[46:47], v[12:13], -v[0:1]
	v_fmac_f64_e32 v[2:3], v[48:49], v[12:13]
	v_fma_f64 v[54:55], v[54:55], v[16:17], -v[58:59]
	s_waitcnt vmcnt(5)
	v_mul_f64 v[48:49], v[64:65], v[26:27]
	v_fmac_f64_e32 v[90:91], v[56:57], v[16:17]
	s_waitcnt vmcnt(4)
	v_mul_f64 v[46:47], v[52:53], v[22:23]
	v_fma_f64 v[108:109], v[62:63], v[24:25], -v[48:49]
	v_add_f64 v[48:49], v[0:1], v[54:55]
	v_fma_f64 v[106:107], v[50:51], v[20:21], -v[46:47]
	v_add_f64 v[46:47], v[36:37], v[0:1]
	v_fmac_f64_e32 v[36:37], -0.5, v[48:49]
	v_add_f64 v[48:49], v[2:3], -v[90:91]
	v_mul_f64 v[58:59], v[50:51], v[22:23]
	v_fma_f64 v[50:51], s[14:15], v[48:49], v[36:37]
	v_fmac_f64_e32 v[36:37], s[0:1], v[48:49]
	v_add_f64 v[48:49], v[38:39], v[2:3]
	v_add_f64 v[2:3], v[2:3], v[90:91]
	v_fmac_f64_e32 v[38:39], -0.5, v[2:3]
	v_add_f64 v[0:1], v[0:1], -v[54:55]
	v_mul_f64 v[92:93], v[62:63], v[26:27]
	v_fmac_f64_e32 v[58:59], v[52:53], v[20:21]
	v_fma_f64 v[52:53], s[0:1], v[0:1], v[38:39]
	v_fmac_f64_e32 v[38:39], s[14:15], v[0:1]
	v_add_f64 v[0:1], v[40:41], v[106:107]
	v_fmac_f64_e32 v[92:93], v[64:65], v[24:25]
	v_add_f64 v[46:47], v[46:47], v[54:55]
	v_add_f64 v[54:55], v[0:1], v[108:109]
	;; [unrolled: 1-line block ×3, first 2 shown]
	v_fmac_f64_e32 v[40:41], -0.5, v[0:1]
	v_add_f64 v[0:1], v[58:59], -v[92:93]
	s_waitcnt vmcnt(2)
	v_mul_f64 v[56:57], v[76:77], v[30:31]
	v_fma_f64 v[62:63], s[14:15], v[0:1], v[40:41]
	v_fmac_f64_e32 v[40:41], s[0:1], v[0:1]
	v_add_f64 v[0:1], v[42:43], v[58:59]
	v_fma_f64 v[110:111], v[74:75], v[28:29], -v[56:57]
	v_add_f64 v[56:57], v[0:1], v[92:93]
	v_add_f64 v[0:1], v[58:59], v[92:93]
	v_mul_f64 v[96:97], v[84:85], v[34:35]
	v_fmac_f64_e32 v[42:43], -0.5, v[0:1]
	v_add_f64 v[0:1], v[106:107], -v[108:109]
	v_mul_f64 v[94:95], v[74:75], v[30:31]
	v_mul_f64 v[98:99], v[82:83], v[34:35]
	v_fma_f64 v[82:83], v[82:83], v[32:33], -v[96:97]
	v_fma_f64 v[64:65], s[0:1], v[0:1], v[42:43]
	v_fmac_f64_e32 v[42:43], s[14:15], v[0:1]
	v_add_f64 v[0:1], v[66:67], v[110:111]
	v_fmac_f64_e32 v[94:95], v[76:77], v[28:29]
	v_fmac_f64_e32 v[98:99], v[84:85], v[32:33]
	v_add_f64 v[74:75], v[0:1], v[82:83]
	v_add_f64 v[0:1], v[110:111], v[82:83]
	s_waitcnt vmcnt(1)
	v_mul_f64 v[100:101], v[80:81], v[204:205]
	v_fmac_f64_e32 v[66:67], -0.5, v[0:1]
	v_add_f64 v[0:1], v[94:95], -v[98:99]
	v_mul_f64 v[102:103], v[78:79], v[204:205]
	v_fma_f64 v[96:97], v[78:79], v[202:203], -v[100:101]
	v_fma_f64 v[78:79], s[14:15], v[0:1], v[66:67]
	v_fmac_f64_e32 v[66:67], s[0:1], v[0:1]
	v_add_f64 v[0:1], v[68:69], v[94:95]
	v_add_f64 v[76:77], v[0:1], v[98:99]
	;; [unrolled: 1-line block ×3, first 2 shown]
	s_waitcnt vmcnt(0)
	v_mul_f64 v[104:105], v[88:89], v[200:201]
	v_fmac_f64_e32 v[68:69], -0.5, v[0:1]
	v_add_f64 v[0:1], v[110:111], -v[82:83]
	v_fmac_f64_e32 v[102:103], v[80:81], v[202:203]
	v_fma_f64 v[100:101], v[86:87], v[198:199], -v[104:105]
	v_mul_f64 v[104:105], v[86:87], v[200:201]
	v_fma_f64 v[80:81], s[0:1], v[0:1], v[68:69]
	v_fmac_f64_e32 v[68:69], s[14:15], v[0:1]
	v_add_f64 v[0:1], v[70:71], v[96:97]
	v_fmac_f64_e32 v[104:105], v[88:89], v[198:199]
	v_add_f64 v[82:83], v[0:1], v[100:101]
	v_add_f64 v[0:1], v[96:97], v[100:101]
	v_fmac_f64_e32 v[70:71], -0.5, v[0:1]
	v_add_f64 v[0:1], v[102:103], -v[104:105]
	v_fma_f64 v[86:87], s[14:15], v[0:1], v[70:71]
	v_fmac_f64_e32 v[70:71], s[0:1], v[0:1]
	v_add_f64 v[0:1], v[72:73], v[102:103]
	v_add_f64 v[84:85], v[0:1], v[104:105]
	;; [unrolled: 1-line block ×3, first 2 shown]
	v_fmac_f64_e32 v[72:73], -0.5, v[0:1]
	v_add_f64 v[0:1], v[96:97], -v[100:101]
	v_fma_f64 v[88:89], s[0:1], v[0:1], v[72:73]
	v_fmac_f64_e32 v[72:73], s[14:15], v[0:1]
	v_mul_u32_u24_e32 v0, 39, v4
	v_add_lshl_u32 v194, v0, v5, 4
	v_mad_legacy_u16 v0, v6, 39, v7
	v_lshlrev_b32_e32 v195, 4, v0
	v_mad_legacy_u16 v0, v8, 39, v9
	v_lshlrev_b32_e32 v206, 4, v0
	;; [unrolled: 2-line block ×3, first 2 shown]
	v_mul_lo_u16_sdwa v0, v192, s16 dst_sel:DWORD dst_unused:UNUSED_PAD src0_sel:BYTE_0 src1_sel:DWORD
	v_sub_u16_sdwa v1, v192, v0 dst_sel:DWORD dst_unused:UNUSED_PAD src0_sel:DWORD src1_sel:BYTE_1
	v_lshrrev_b16_e32 v1, 1, v1
	v_and_b32_e32 v1, 0x7f, v1
	v_add_u16_sdwa v0, v1, v0 dst_sel:DWORD dst_unused:UNUSED_PAD src0_sel:DWORD src1_sel:BYTE_1
	v_lshrrev_b16_e32 v0, 5, v0
	v_and_b32_e32 v4, 7, v0
	v_mul_lo_u16_e32 v0, 39, v4
	v_sub_u16_e32 v0, v192, v0
	v_and_b32_e32 v5, 0xff, v0
	v_mad_u64_u32 v[0:1], s[16:17], v5, 48, s[10:11]
	s_mov_b32 s16, 0xa41b
	s_nop 0
	v_mul_u32_u24_sdwa v2, v44, s16 dst_sel:DWORD dst_unused:UNUSED_PAD src0_sel:WORD_0 src1_sel:DWORD
	v_sub_u16_sdwa v3, v44, v2 dst_sel:DWORD dst_unused:UNUSED_PAD src0_sel:DWORD src1_sel:WORD_1
	v_lshrrev_b16_e32 v3, 1, v3
	v_add_u16_sdwa v2, v3, v2 dst_sel:DWORD dst_unused:UNUSED_PAD src0_sel:DWORD src1_sel:WORD_1
	v_lshrrev_b16_e32 v6, 5, v2
	v_mul_lo_u16_e32 v2, 39, v6
	v_sub_u16_e32 v7, v44, v2
	v_add_f64 v[48:49], v[48:49], v[90:91]
	v_mul_lo_u16_e32 v164, 48, v7
	ds_write_b128 v194, v[46:49]
	ds_write_b128 v194, v[50:53] offset:208
	ds_write_b128 v194, v[36:39] offset:416
	ds_write_b128 v195, v[54:57]
	ds_write_b128 v195, v[62:65] offset:208
	ds_write_b128 v195, v[40:43] offset:416
	;; [unrolled: 3-line block ×4, first 2 shown]
	s_waitcnt lgkmcnt(0)
	s_barrier
	global_load_dwordx4 v[36:39], v[0:1], off offset:432
	global_load_dwordx4 v[40:43], v[0:1], off offset:416
	;; [unrolled: 1-line block ×3, first 2 shown]
	v_lshl_add_u64 v[0:1], s[10:11], 0, v[164:165]
	global_load_dwordx4 v[56:59], v[0:1], off offset:416
	global_load_dwordx4 v[48:51], v[0:1], off offset:448
	;; [unrolled: 1-line block ×3, first 2 shown]
	v_mul_u32_u24_sdwa v0, v60, s16 dst_sel:DWORD dst_unused:UNUSED_PAD src0_sel:WORD_0 src1_sel:DWORD
	v_sub_u16_sdwa v1, v60, v0 dst_sel:DWORD dst_unused:UNUSED_PAD src0_sel:DWORD src1_sel:WORD_1
	v_lshrrev_b16_e32 v1, 1, v1
	v_add_u16_sdwa v0, v1, v0 dst_sel:DWORD dst_unused:UNUSED_PAD src0_sel:DWORD src1_sel:WORD_1
	v_lshrrev_b16_e32 v8, 5, v0
	v_mul_lo_u16_e32 v0, 39, v8
	v_sub_u16_e32 v9, v60, v0
	v_mul_lo_u16_e32 v164, 48, v9
	v_lshl_add_u64 v[0:1], s[10:11], 0, v[164:165]
	global_load_dwordx4 v[68:71], v[0:1], off offset:416
	global_load_dwordx4 v[64:67], v[0:1], off offset:432
	;; [unrolled: 1-line block ×3, first 2 shown]
	ds_read_b128 v[74:77], v193
	ds_read_b128 v[78:81], v193 offset:2496
	ds_read_b128 v[82:85], v193 offset:14976
	;; [unrolled: 1-line block ×11, first 2 shown]
	v_mov_b64_e32 v[72:73], s[10:11]
	s_movk_i32 s10, 0x9c
	s_waitcnt lgkmcnt(0)
	s_barrier
	s_waitcnt vmcnt(7)
	v_mul_f64 v[0:1], v[92:93], v[42:43]
	v_fma_f64 v[0:1], v[90:91], v[40:41], -v[0:1]
	v_mul_f64 v[2:3], v[90:91], v[42:43]
	v_mul_f64 v[90:91], v[84:85], v[38:39]
	v_fma_f64 v[90:91], v[82:83], v[36:37], -v[90:91]
	v_mul_f64 v[82:83], v[82:83], v[38:39]
	v_fmac_f64_e32 v[82:83], v[84:85], v[36:37]
	s_waitcnt vmcnt(6)
	v_mul_f64 v[84:85], v[108:109], v[46:47]
	v_fmac_f64_e32 v[2:3], v[92:93], v[40:41]
	v_fma_f64 v[84:85], v[106:107], v[44:45], -v[84:85]
	v_mul_f64 v[92:93], v[106:107], v[46:47]
	s_waitcnt vmcnt(5)
	v_mul_f64 v[106:107], v[100:101], v[58:59]
	v_fma_f64 v[106:107], v[98:99], v[56:57], -v[106:107]
	v_mul_f64 v[98:99], v[98:99], v[58:59]
	v_fmac_f64_e32 v[98:99], v[100:101], v[56:57]
	s_waitcnt vmcnt(3)
	v_mul_f64 v[100:101], v[88:89], v[54:55]
	v_fmac_f64_e32 v[92:93], v[108:109], v[44:45]
	v_fma_f64 v[100:101], v[86:87], v[52:53], -v[100:101]
	v_mul_f64 v[108:109], v[86:87], v[54:55]
	v_mul_f64 v[86:87], v[116:117], v[50:51]
	v_fma_f64 v[122:123], v[114:115], v[48:49], -v[86:87]
	v_mul_f64 v[114:115], v[114:115], v[50:51]
	s_waitcnt vmcnt(2)
	v_mul_f64 v[86:87], v[104:105], v[70:71]
	v_fmac_f64_e32 v[114:115], v[116:117], v[48:49]
	v_fma_f64 v[116:117], v[102:103], v[68:69], -v[86:87]
	s_waitcnt vmcnt(1)
	v_mul_f64 v[86:87], v[112:113], v[66:67]
	v_fmac_f64_e32 v[108:109], v[88:89], v[52:53]
	v_mul_f64 v[124:125], v[102:103], v[70:71]
	v_fma_f64 v[126:127], v[110:111], v[64:65], -v[86:87]
	v_mul_f64 v[110:111], v[110:111], v[66:67]
	s_waitcnt vmcnt(0)
	v_mul_f64 v[86:87], v[120:121], v[62:63]
	v_add_f64 v[90:91], v[74:75], -v[90:91]
	v_add_f64 v[102:103], v[76:77], -v[82:83]
	;; [unrolled: 1-line block ×4, first 2 shown]
	v_fmac_f64_e32 v[110:111], v[112:113], v[64:65]
	v_fma_f64 v[112:113], v[118:119], v[60:61], -v[86:87]
	v_fma_f64 v[82:83], v[74:75], 2.0, -v[90:91]
	v_fma_f64 v[86:87], v[76:77], 2.0, -v[102:103]
	;; [unrolled: 1-line block ×4, first 2 shown]
	v_fmac_f64_e32 v[124:125], v[104:105], v[68:69]
	v_add_f64 v[74:75], v[82:83], -v[0:1]
	v_add_f64 v[76:77], v[86:87], -v[2:3]
	v_add_f64 v[88:89], v[102:103], v[88:89]
	v_add_f64 v[0:1], v[78:79], -v[100:101]
	v_add_f64 v[2:3], v[80:81], -v[108:109]
	;; [unrolled: 1-line block ×4, first 2 shown]
	v_mul_f64 v[118:119], v[118:119], v[62:63]
	v_fma_f64 v[84:85], v[86:87], 2.0, -v[76:77]
	v_add_f64 v[86:87], v[90:91], -v[92:93]
	v_fma_f64 v[92:93], v[102:103], 2.0, -v[88:89]
	v_fma_f64 v[100:101], v[78:79], 2.0, -v[0:1]
	;; [unrolled: 1-line block ×5, first 2 shown]
	v_fmac_f64_e32 v[118:119], v[120:121], v[60:61]
	v_add_f64 v[78:79], v[100:101], -v[78:79]
	v_add_f64 v[80:81], v[102:103], -v[80:81]
	v_add_f64 v[104:105], v[2:3], v[104:105]
	v_fma_f64 v[98:99], v[100:101], 2.0, -v[78:79]
	v_fma_f64 v[100:101], v[102:103], 2.0, -v[80:81]
	v_add_f64 v[102:103], v[0:1], -v[108:109]
	v_fma_f64 v[108:109], v[2:3], 2.0, -v[104:105]
	v_add_f64 v[2:3], v[96:97], -v[110:111]
	v_add_f64 v[118:119], v[124:125], -v[118:119]
	v_fma_f64 v[114:115], v[96:97], 2.0, -v[2:3]
	v_fma_f64 v[96:97], v[124:125], 2.0, -v[118:119]
	;; [unrolled: 1-line block ×3, first 2 shown]
	v_add_f64 v[0:1], v[94:95], -v[126:127]
	v_add_f64 v[96:97], v[114:115], -v[96:97]
	;; [unrolled: 1-line block ×3, first 2 shown]
	v_fma_f64 v[112:113], v[114:115], 2.0, -v[96:97]
	v_add_f64 v[114:115], v[0:1], -v[118:119]
	v_fma_f64 v[110:111], v[94:95], 2.0, -v[0:1]
	v_fma_f64 v[118:119], v[0:1], 2.0, -v[114:115]
	v_mul_u32_u24_sdwa v0, v4, s10 dst_sel:DWORD dst_unused:UNUSED_PAD src0_sel:WORD_0 src1_sel:DWORD
	v_fma_f64 v[94:95], v[116:117], 2.0, -v[120:121]
	v_add_lshl_u32 v208, v0, v5, 4
	v_mad_legacy_u16 v0, v6, s10, v7
	v_fma_f64 v[82:83], v[82:83], 2.0, -v[74:75]
	v_add_f64 v[94:95], v[110:111], -v[94:95]
	v_lshlrev_b32_e32 v209, 4, v0
	v_mad_legacy_u16 v0, v8, s10, v9
	s_movk_i32 s10, 0x50
	v_fma_f64 v[90:91], v[90:91], 2.0, -v[86:87]
	v_fma_f64 v[110:111], v[110:111], 2.0, -v[94:95]
	v_add_f64 v[116:117], v[2:3], v[120:121]
	ds_write_b128 v208, v[82:85]
	ds_write_b128 v208, v[90:93] offset:624
	ds_write_b128 v208, v[74:77] offset:1248
	;; [unrolled: 1-line block ×3, first 2 shown]
	v_lshlrev_b32_e32 v247, 4, v0
	v_mad_u64_u32 v[92:93], s[10:11], v192, s10, v[72:73]
	v_fma_f64 v[120:121], v[2:3], 2.0, -v[116:117]
	ds_write_b128 v209, v[98:101]
	ds_write_b128 v209, v[106:109] offset:624
	ds_write_b128 v209, v[78:81] offset:1248
	;; [unrolled: 1-line block ×3, first 2 shown]
	ds_write_b128 v247, v[110:113]
	ds_write_b128 v247, v[118:121] offset:624
	ds_write_b128 v247, v[94:97] offset:1248
	ds_write_b128 v247, v[114:117] offset:1872
	s_waitcnt lgkmcnt(0)
	s_barrier
	global_load_dwordx4 v[84:87], v[92:93], off offset:2288
	global_load_dwordx4 v[80:83], v[92:93], off offset:2304
	;; [unrolled: 1-line block ×5, first 2 shown]
	ds_read_b128 v[94:97], v193
	ds_read_b128 v[98:101], v193 offset:2496
	ds_read_b128 v[102:105], v193 offset:4992
	;; [unrolled: 1-line block ×11, first 2 shown]
	s_waitcnt lgkmcnt(0)
	s_barrier
	s_waitcnt vmcnt(4)
	v_mul_f64 v[0:1], v[104:105], v[86:87]
	v_fma_f64 v[0:1], v[102:103], v[84:85], -v[0:1]
	v_mul_f64 v[2:3], v[102:103], v[86:87]
	s_waitcnt vmcnt(3)
	v_mul_f64 v[102:103], v[112:113], v[82:83]
	v_fmac_f64_e32 v[2:3], v[104:105], v[84:85]
	v_fma_f64 v[102:103], v[110:111], v[80:81], -v[102:103]
	v_mul_f64 v[104:105], v[110:111], v[82:83]
	s_waitcnt vmcnt(2)
	v_mul_f64 v[110:111], v[120:121], v[78:79]
	v_fmac_f64_e32 v[104:105], v[112:113], v[80:81]
	;; [unrolled: 5-line block ×4, first 2 shown]
	v_fma_f64 v[126:127], v[134:135], v[88:89], -v[126:127]
	v_mul_f64 v[128:129], v[134:135], v[90:91]
	v_mul_f64 v[134:135], v[108:109], v[86:87]
	v_fmac_f64_e32 v[128:129], v[136:137], v[88:89]
	v_fma_f64 v[134:135], v[106:107], v[84:85], -v[134:135]
	v_mul_f64 v[136:137], v[106:107], v[86:87]
	v_mul_f64 v[106:107], v[116:117], v[82:83]
	v_fma_f64 v[142:143], v[114:115], v[80:81], -v[106:107]
	v_mul_f64 v[106:107], v[124:125], v[78:79]
	v_fma_f64 v[146:147], v[122:123], v[76:77], -v[106:107]
	v_mul_f64 v[122:123], v[122:123], v[78:79]
	v_mul_f64 v[106:107], v[132:133], v[74:75]
	v_fmac_f64_e32 v[122:123], v[124:125], v[76:77]
	v_fma_f64 v[124:125], v[130:131], v[72:73], -v[106:107]
	v_mul_f64 v[130:131], v[130:131], v[74:75]
	v_mul_f64 v[106:107], v[140:141], v[90:91]
	v_fmac_f64_e32 v[130:131], v[132:133], v[72:73]
	v_fma_f64 v[132:133], v[138:139], v[88:89], -v[106:107]
	v_add_f64 v[106:107], v[94:95], v[102:103]
	v_mul_f64 v[144:145], v[114:115], v[82:83]
	v_add_f64 v[114:115], v[106:107], v[118:119]
	v_add_f64 v[106:107], v[102:103], v[118:119]
	v_fmac_f64_e32 v[94:95], -0.5, v[106:107]
	v_add_f64 v[106:107], v[104:105], -v[120:121]
	v_fmac_f64_e32 v[144:145], v[116:117], v[80:81]
	v_fma_f64 v[116:117], s[14:15], v[106:107], v[94:95]
	v_fmac_f64_e32 v[94:95], s[0:1], v[106:107]
	v_add_f64 v[106:107], v[96:97], v[104:105]
	v_add_f64 v[104:105], v[104:105], v[120:121]
	v_mul_f64 v[138:139], v[138:139], v[90:91]
	v_fmac_f64_e32 v[96:97], -0.5, v[104:105]
	v_add_f64 v[102:103], v[102:103], -v[118:119]
	v_fmac_f64_e32 v[138:139], v[140:141], v[88:89]
	v_add_f64 v[140:141], v[106:107], v[120:121]
	v_fma_f64 v[120:121], s[0:1], v[102:103], v[96:97]
	v_fmac_f64_e32 v[96:97], s[14:15], v[102:103]
	v_add_f64 v[102:103], v[0:1], v[110:111]
	v_add_f64 v[118:119], v[102:103], v[126:127]
	;; [unrolled: 1-line block ×3, first 2 shown]
	v_fmac_f64_e32 v[0:1], -0.5, v[102:103]
	v_add_f64 v[102:103], v[112:113], -v[128:129]
	v_fmac_f64_e32 v[136:137], v[108:109], v[84:85]
	v_fma_f64 v[108:109], s[14:15], v[102:103], v[0:1]
	v_fmac_f64_e32 v[0:1], s[0:1], v[102:103]
	v_add_f64 v[102:103], v[2:3], v[112:113]
	v_add_f64 v[148:149], v[102:103], v[128:129]
	;; [unrolled: 1-line block ×3, first 2 shown]
	v_fmac_f64_e32 v[2:3], -0.5, v[102:103]
	v_add_f64 v[102:103], v[110:111], -v[126:127]
	v_fma_f64 v[112:113], s[0:1], v[102:103], v[2:3]
	v_fmac_f64_e32 v[2:3], s[14:15], v[102:103]
	v_mul_f64 v[128:129], v[0:1], -0.5
	v_fmac_f64_e32 v[128:129], s[14:15], v[2:3]
	v_mul_f64 v[2:3], v[2:3], -0.5
	v_mul_f64 v[126:127], v[112:113], s[14:15]
	v_mul_f64 v[150:151], v[108:109], s[0:1]
	v_fmac_f64_e32 v[2:3], s[0:1], v[0:1]
	v_fmac_f64_e32 v[126:127], 0.5, v[108:109]
	v_fmac_f64_e32 v[150:151], 0.5, v[112:113]
	v_add_f64 v[112:113], v[96:97], v[2:3]
	v_add_f64 v[96:97], v[96:97], -v[2:3]
	v_add_f64 v[2:3], v[142:143], v[124:125]
	v_add_f64 v[102:103], v[114:115], v[118:119]
	v_add_f64 v[106:107], v[116:117], v[126:127]
	v_add_f64 v[114:115], v[114:115], -v[118:119]
	v_add_f64 v[118:119], v[116:117], -v[126:127]
	v_add_f64 v[0:1], v[98:99], v[142:143]
	v_fmac_f64_e32 v[98:99], -0.5, v[2:3]
	v_add_f64 v[2:3], v[144:145], -v[130:131]
	v_add_f64 v[126:127], v[144:145], v[130:131]
	v_add_f64 v[104:105], v[140:141], v[148:149]
	v_add_f64 v[116:117], v[140:141], -v[148:149]
	v_add_f64 v[0:1], v[0:1], v[124:125]
	v_fma_f64 v[140:141], s[14:15], v[2:3], v[98:99]
	v_fmac_f64_e32 v[98:99], s[0:1], v[2:3]
	v_add_f64 v[2:3], v[100:101], v[144:145]
	v_fmac_f64_e32 v[100:101], -0.5, v[126:127]
	v_add_f64 v[124:125], v[142:143], -v[124:125]
	v_fma_f64 v[142:143], s[0:1], v[124:125], v[100:101]
	v_fmac_f64_e32 v[100:101], s[14:15], v[124:125]
	v_add_f64 v[124:125], v[134:135], v[146:147]
	v_add_f64 v[144:145], v[124:125], v[132:133]
	;; [unrolled: 1-line block ×3, first 2 shown]
	v_fmac_f64_e32 v[134:135], -0.5, v[124:125]
	v_add_f64 v[124:125], v[122:123], -v[138:139]
	v_add_f64 v[110:111], v[94:95], v[128:129]
	v_add_f64 v[94:95], v[94:95], -v[128:129]
	v_fma_f64 v[128:129], s[14:15], v[124:125], v[134:135]
	v_fmac_f64_e32 v[134:135], s[0:1], v[124:125]
	v_add_f64 v[124:125], v[136:137], v[122:123]
	v_add_f64 v[122:123], v[122:123], v[138:139]
	v_fmac_f64_e32 v[136:137], -0.5, v[122:123]
	v_add_f64 v[122:123], v[146:147], -v[132:133]
	v_fma_f64 v[132:133], s[0:1], v[122:123], v[136:137]
	v_fmac_f64_e32 v[136:137], s[14:15], v[122:123]
	v_mul_f64 v[152:153], v[136:137], -0.5
	v_add_f64 v[2:3], v[2:3], v[130:131]
	v_add_f64 v[148:149], v[124:125], v[138:139]
	;; [unrolled: 1-line block ×3, first 2 shown]
	v_mul_f64 v[146:147], v[134:135], -0.5
	v_fmac_f64_e32 v[152:153], s[0:1], v[134:135]
	v_add_f64 v[134:135], v[0:1], -v[144:145]
	v_lshlrev_b32_e32 v0, 6, v192
	v_fmac_f64_e32 v[146:147], s[14:15], v[136:137]
	v_add_f64 v[124:125], v[2:3], v[148:149]
	v_add_f64 v[136:137], v[2:3], -v[148:149]
	v_sub_co_u32_e32 v2, vcc, v92, v0
	v_add_f64 v[108:109], v[120:121], v[150:151]
	v_add_f64 v[120:121], v[120:121], -v[150:151]
	v_mul_f64 v[150:151], v[128:129], s[0:1]
	v_subbrev_co_u32_e32 v3, vcc, 0, v93, vcc
	s_movk_i32 s0, 0x3000
	v_mul_f64 v[138:139], v[132:133], s[14:15]
	v_add_co_u32_e32 v0, vcc, s0, v2
	v_fmac_f64_e32 v[138:139], 0.5, v[128:129]
	v_fmac_f64_e32 v[150:151], 0.5, v[132:133]
	v_addc_co_u32_e32 v1, vcc, 0, v3, vcc
	s_movk_i32 s0, 0x4000
	v_add_f64 v[126:127], v[140:141], v[138:139]
	v_add_f64 v[130:131], v[98:99], v[146:147]
	;; [unrolled: 1-line block ×4, first 2 shown]
	v_add_f64 v[138:139], v[140:141], -v[138:139]
	v_add_f64 v[98:99], v[98:99], -v[146:147]
	;; [unrolled: 1-line block ×4, first 2 shown]
	ds_write_b128 v193, v[102:105]
	ds_write_b128 v193, v[106:109] offset:2496
	ds_write_b128 v193, v[110:113] offset:4992
	;; [unrolled: 1-line block ×11, first 2 shown]
	s_waitcnt lgkmcnt(0)
	s_barrier
	global_load_dwordx4 v[92:95], v[0:1], off offset:2480
	v_add_co_u32_e32 v0, vcc, s0, v2
	s_movk_i32 s0, 0x5000
	s_nop 0
	v_addc_co_u32_e32 v1, vcc, 0, v3, vcc
	global_load_dwordx4 v[96:99], v[0:1], off offset:880
	global_load_dwordx4 v[100:103], v[0:1], off offset:3376
	v_add_co_u32_e32 v0, vcc, s0, v2
	s_movk_i32 s0, 0x6000
	s_nop 0
	v_addc_co_u32_e32 v1, vcc, 0, v3, vcc
	global_load_dwordx4 v[104:107], v[0:1], off offset:1776
	v_add_co_u32_e32 v0, vcc, s0, v2
	s_nop 1
	v_addc_co_u32_e32 v1, vcc, 0, v3, vcc
	global_load_dwordx4 v[108:111], v[0:1], off offset:176
	global_load_dwordx4 v[112:115], v[0:1], off offset:2672
	ds_read_b128 v[116:119], v193
	ds_read_b128 v[124:127], v193 offset:2496
	ds_read_b128 v[120:123], v193 offset:14976
	ds_read_b128 v[128:131], v193 offset:17472
	ds_read_b128 v[132:135], v193 offset:4992
	ds_read_b128 v[140:143], v193 offset:7488
	ds_read_b128 v[136:139], v193 offset:19968
	ds_read_b128 v[144:147], v193 offset:22464
	ds_read_b128 v[148:151], v193 offset:9984
	ds_read_b128 v[156:159], v193 offset:12480
	ds_read_b128 v[152:155], v193 offset:24960
	ds_read_b128 v[160:163], v193 offset:27456
	s_waitcnt vmcnt(5) lgkmcnt(9)
	v_mul_f64 v[0:1], v[122:123], v[94:95]
	v_fma_f64 v[0:1], v[120:121], v[92:93], -v[0:1]
	v_mul_f64 v[2:3], v[120:121], v[94:95]
	v_fmac_f64_e32 v[2:3], v[122:123], v[92:93]
	v_add_f64 v[122:123], v[118:119], -v[2:3]
	s_waitcnt vmcnt(4) lgkmcnt(8)
	v_mul_f64 v[120:121], v[130:131], v[98:99]
	v_fma_f64 v[166:167], v[128:129], v[96:97], -v[120:121]
	s_waitcnt vmcnt(3) lgkmcnt(5)
	v_mul_f64 v[120:121], v[138:139], v[102:103]
	v_fma_f64 v[170:171], v[136:137], v[100:101], -v[120:121]
	v_mul_f64 v[168:169], v[128:129], v[98:99]
	v_mul_f64 v[172:173], v[136:137], v[102:103]
	v_fmac_f64_e32 v[168:169], v[130:131], v[96:97]
	s_waitcnt vmcnt(2) lgkmcnt(4)
	v_mul_f64 v[120:121], v[146:147], v[106:107]
	v_fma_f64 v[174:175], v[144:145], v[104:105], -v[120:121]
	v_mul_f64 v[176:177], v[144:145], v[106:107]
	v_fmac_f64_e32 v[172:173], v[138:139], v[100:101]
	v_fmac_f64_e32 v[176:177], v[146:147], v[104:105]
	s_waitcnt vmcnt(1) lgkmcnt(1)
	v_mul_f64 v[120:121], v[154:155], v[110:111]
	v_fma_f64 v[178:179], v[152:153], v[108:109], -v[120:121]
	v_mul_f64 v[180:181], v[152:153], v[110:111]
	s_waitcnt vmcnt(0) lgkmcnt(0)
	v_mul_f64 v[120:121], v[162:163], v[114:115]
	v_mul_f64 v[184:185], v[160:161], v[114:115]
	v_fmac_f64_e32 v[180:181], v[154:155], v[108:109]
	v_fma_f64 v[182:183], v[160:161], v[112:113], -v[120:121]
	v_fmac_f64_e32 v[184:185], v[162:163], v[112:113]
	v_add_f64 v[120:121], v[116:117], -v[0:1]
	v_add_f64 v[128:129], v[124:125], -v[166:167]
	;; [unrolled: 1-line block ×11, first 2 shown]
	v_fma_f64 v[116:117], v[116:117], 2.0, -v[120:121]
	v_fma_f64 v[118:119], v[118:119], 2.0, -v[122:123]
	v_fma_f64 v[124:125], v[124:125], 2.0, -v[128:129]
	v_fma_f64 v[126:127], v[126:127], 2.0, -v[130:131]
	v_fma_f64 v[132:133], v[132:133], 2.0, -v[136:137]
	v_fma_f64 v[134:135], v[134:135], 2.0, -v[138:139]
	v_fma_f64 v[140:141], v[140:141], 2.0, -v[144:145]
	v_fma_f64 v[142:143], v[142:143], 2.0, -v[146:147]
	v_fma_f64 v[148:149], v[148:149], 2.0, -v[152:153]
	v_fma_f64 v[150:151], v[150:151], 2.0, -v[154:155]
	v_fma_f64 v[156:157], v[156:157], 2.0, -v[160:161]
	v_fma_f64 v[158:159], v[158:159], 2.0, -v[162:163]
	ds_write_b128 v193, v[116:119]
	ds_write_b128 v193, v[120:123] offset:14976
	ds_write_b128 v193, v[124:127] offset:2496
	;; [unrolled: 1-line block ×11, first 2 shown]
	s_waitcnt lgkmcnt(0)
	s_barrier
	s_and_saveexec_b64 s[0:1], s[2:3]
	s_cbranch_execz .LBB0_9
; %bb.8:
	v_mov_b32_e32 v197, v165
	v_lshl_add_u64 v[168:169], s[12:13], 0, v[196:197]
	v_add_co_u32_e32 v2, vcc, 0x7000, v168
	ds_read_b128 v[164:167], v193
	s_nop 0
	v_addc_co_u32_e32 v3, vcc, 0, v169, vcc
	global_load_dwordx4 v[170:173], v[2:3], off offset:1280
	s_mov_b64 s[10:11], 0x7500
	v_lshl_add_u64 v[0:1], v[168:169], 0, s[10:11]
	s_mov_b32 s10, 0x8000
	s_waitcnt vmcnt(0) lgkmcnt(0)
	v_mul_f64 v[2:3], v[166:167], v[172:173]
	v_mul_f64 v[176:177], v[164:165], v[172:173]
	v_fma_f64 v[174:175], v[164:165], v[170:171], -v[2:3]
	v_fmac_f64_e32 v[176:177], v[166:167], v[170:171]
	global_load_dwordx4 v[170:173], v[0:1], off offset:2304
	ds_write_b128 v193, v[174:177]
	ds_read_b128 v[164:167], v246 offset:2304
	s_waitcnt vmcnt(0) lgkmcnt(0)
	v_mul_f64 v[0:1], v[166:167], v[172:173]
	v_fma_f64 v[174:175], v[164:165], v[170:171], -v[0:1]
	v_add_co_u32_e32 v0, vcc, s10, v168
	v_mul_f64 v[176:177], v[164:165], v[172:173]
	s_nop 0
	v_addc_co_u32_e32 v1, vcc, 0, v169, vcc
	v_fmac_f64_e32 v[176:177], v[166:167], v[170:171]
	global_load_dwordx4 v[170:173], v[0:1], off offset:1792
	ds_read_b128 v[164:167], v246 offset:4608
	s_mov_b32 s10, 0x9000
	ds_write_b128 v246, v[174:177] offset:2304
	s_waitcnt vmcnt(0) lgkmcnt(1)
	v_mul_f64 v[0:1], v[166:167], v[172:173]
	v_fma_f64 v[174:175], v[164:165], v[170:171], -v[0:1]
	v_add_co_u32_e32 v0, vcc, s10, v168
	v_mul_f64 v[176:177], v[164:165], v[172:173]
	s_nop 0
	v_addc_co_u32_e32 v1, vcc, 0, v169, vcc
	v_fmac_f64_e32 v[176:177], v[166:167], v[170:171]
	global_load_dwordx4 v[170:173], v[0:1], off
	ds_read_b128 v[164:167], v246 offset:6912
	ds_write_b128 v246, v[174:177] offset:4608
	s_mov_b32 s10, 0xa000
	s_waitcnt vmcnt(0) lgkmcnt(1)
	v_mul_f64 v[2:3], v[166:167], v[172:173]
	v_mul_f64 v[176:177], v[164:165], v[172:173]
	v_fma_f64 v[174:175], v[164:165], v[170:171], -v[2:3]
	v_fmac_f64_e32 v[176:177], v[166:167], v[170:171]
	global_load_dwordx4 v[170:173], v[0:1], off offset:2304
	ds_read_b128 v[164:167], v246 offset:9216
	ds_write_b128 v246, v[174:177] offset:6912
	s_waitcnt vmcnt(0) lgkmcnt(1)
	v_mul_f64 v[0:1], v[166:167], v[172:173]
	v_fma_f64 v[174:175], v[164:165], v[170:171], -v[0:1]
	v_add_co_u32_e32 v0, vcc, s10, v168
	v_mul_f64 v[176:177], v[164:165], v[172:173]
	s_nop 0
	v_addc_co_u32_e32 v1, vcc, 0, v169, vcc
	v_fmac_f64_e32 v[176:177], v[166:167], v[170:171]
	global_load_dwordx4 v[170:173], v[0:1], off offset:512
	ds_read_b128 v[164:167], v246 offset:11520
	ds_write_b128 v246, v[174:177] offset:9216
	s_mov_b32 s10, 0xb000
	s_waitcnt vmcnt(0) lgkmcnt(1)
	v_mul_f64 v[2:3], v[166:167], v[172:173]
	v_mul_f64 v[176:177], v[164:165], v[172:173]
	v_fma_f64 v[174:175], v[164:165], v[170:171], -v[2:3]
	v_fmac_f64_e32 v[176:177], v[166:167], v[170:171]
	global_load_dwordx4 v[170:173], v[0:1], off offset:2816
	ds_read_b128 v[164:167], v246 offset:13824
	ds_write_b128 v246, v[174:177] offset:11520
	s_waitcnt vmcnt(0) lgkmcnt(1)
	v_mul_f64 v[0:1], v[166:167], v[172:173]
	v_fma_f64 v[174:175], v[164:165], v[170:171], -v[0:1]
	v_add_co_u32_e32 v0, vcc, s10, v168
	v_mul_f64 v[176:177], v[164:165], v[172:173]
	s_nop 0
	v_addc_co_u32_e32 v1, vcc, 0, v169, vcc
	v_fmac_f64_e32 v[176:177], v[166:167], v[170:171]
	global_load_dwordx4 v[170:173], v[0:1], off offset:1024
	;; [unrolled: 20-line block ×4, first 2 shown]
	ds_read_b128 v[164:167], v246 offset:25344
	s_mov_b32 s10, 0xe000
	ds_write_b128 v246, v[174:177] offset:23040
	s_waitcnt vmcnt(0) lgkmcnt(1)
	v_mul_f64 v[0:1], v[166:167], v[172:173]
	v_fma_f64 v[174:175], v[164:165], v[170:171], -v[0:1]
	v_add_co_u32_e32 v0, vcc, s10, v168
	v_mul_f64 v[176:177], v[164:165], v[172:173]
	s_nop 0
	v_addc_co_u32_e32 v1, vcc, 0, v169, vcc
	v_fmac_f64_e32 v[176:177], v[166:167], v[170:171]
	global_load_dwordx4 v[168:171], v[0:1], off offset:256
	ds_read_b128 v[164:167], v246 offset:27648
	ds_write_b128 v246, v[174:177] offset:25344
	s_waitcnt vmcnt(0) lgkmcnt(1)
	v_mul_f64 v[0:1], v[166:167], v[170:171]
	v_mul_f64 v[174:175], v[164:165], v[170:171]
	v_fma_f64 v[172:173], v[164:165], v[168:169], -v[0:1]
	v_fmac_f64_e32 v[174:175], v[166:167], v[168:169]
	ds_write_b128 v246, v[172:175] offset:27648
.LBB0_9:
	s_or_b64 exec, exec, s[0:1]
	s_waitcnt lgkmcnt(0)
	s_barrier
	s_and_saveexec_b64 s[0:1], s[2:3]
	s_cbranch_execz .LBB0_11
; %bb.10:
	ds_read_b128 v[116:119], v193
	ds_read_b128 v[120:123], v193 offset:2304
	ds_read_b128 v[124:127], v193 offset:4608
	;; [unrolled: 1-line block ×12, first 2 shown]
.LBB0_11:
	s_or_b64 exec, exec, s[0:1]
	s_waitcnt lgkmcnt(0)
	s_barrier
	s_and_saveexec_b64 s[0:1], s[2:3]
	s_cbranch_execz .LBB0_13
; %bb.12:
	s_mov_b32 s30, 0x4bc48dbf
	v_accvgpr_write_b32 a18, v32
	v_add_f64 v[232:233], v[120:121], -v[188:189]
	s_mov_b32 s31, 0xbfcea1e5
	s_mov_b32 s26, 0x93053d00
	v_accvgpr_write_b32 a19, v33
	v_accvgpr_write_b32 a20, v34
	;; [unrolled: 1-line block ×3, first 2 shown]
	v_mov_b64_e32 v[32:33], v[188:189]
	s_mov_b32 s24, 0x24c2f84
	v_add_f64 v[230:231], v[124:125], -v[160:161]
	s_mov_b32 s29, 0x3fddbe06
	s_mov_b32 s28, 0x4267c47c
	;; [unrolled: 1-line block ×3, first 2 shown]
	v_mul_f64 v[180:181], v[232:233], s[30:31]
	v_add_f64 v[214:215], v[190:191], v[122:123]
	s_mov_b32 s27, 0xbfef11f4
	v_mov_b64_e32 v[34:35], v[190:191]
	s_mov_b32 s40, 0x42a4c3d2
	v_add_f64 v[220:221], v[128:129], -v[156:157]
	s_mov_b32 s25, 0xbfe5384d
	s_mov_b32 s20, 0xd0032e0c
	v_mul_f64 v[176:177], v[230:231], s[28:29]
	v_add_f64 v[210:211], v[162:163], v[126:127]
	s_mov_b32 s23, 0x3fec55a7
	v_fma_f64 v[182:183], s[26:27], v[214:215], v[180:181]
	v_add_f64 v[244:245], v[122:123], -v[34:35]
	v_accvgpr_write_b32 a30, v202
	s_mov_b32 s18, 0x2ef20147
	v_add_f64 v[212:213], v[132:133], -v[152:153]
	s_mov_b32 s41, 0x3fea55e2
	s_mov_b32 s16, 0x1ea71119
	v_mul_f64 v[172:173], v[220:221], s[24:25]
	v_accvgpr_write_b32 a35, v206
	v_accvgpr_write_b32 a36, v207
	v_add_f64 v[206:207], v[130:131], v[158:159]
	s_mov_b32 s21, 0xbfe7f3cc
	v_fma_f64 v[178:179], s[22:23], v[210:211], v[176:177]
	v_add_f64 v[182:183], v[118:119], v[182:183]
	v_add_f64 v[242:243], v[126:127], -v[162:163]
	v_add_f64 v[228:229], v[32:33], v[120:121]
	v_mul_f64 v[250:251], v[244:245], s[30:31]
	v_accvgpr_write_b32 a31, v203
	v_accvgpr_write_b32 a32, v204
	;; [unrolled: 1-line block ×3, first 2 shown]
	s_mov_b32 s34, 0x66966769
	v_accvgpr_write_b32 a26, v198
	v_accvgpr_write_b32 a37, v208
	;; [unrolled: 1-line block ×3, first 2 shown]
	v_add_f64 v[208:209], v[136:137], -v[148:149]
	s_mov_b32 s19, 0xbfedeba7
	s_mov_b32 s14, 0xb2365da1
	v_mul_f64 v[170:171], v[212:213], s[40:41]
	v_add_f64 v[202:203], v[134:135], v[154:155]
	s_mov_b32 s17, 0x3fe22d96
	v_fma_f64 v[174:175], s[20:21], v[206:207], v[172:173]
	v_add_f64 v[178:179], v[178:179], v[182:183]
	v_add_f64 v[240:241], v[130:131], -v[158:159]
	v_add_f64 v[226:227], v[160:161], v[124:125]
	v_mul_f64 v[190:191], v[242:243], s[28:29]
	v_fma_f64 v[252:253], v[228:229], s[26:27], -v[250:251]
	v_add_f64 v[204:205], v[140:141], -v[144:145]
	s_mov_b32 s35, 0x3fefc445
	v_accvgpr_write_b32 a27, v199
	v_accvgpr_write_b32 a28, v200
	;; [unrolled: 1-line block ×3, first 2 shown]
	s_mov_b32 s10, 0xebaa3ed8
	v_mul_f64 v[168:169], v[208:209], s[18:19]
	v_add_f64 v[200:201], v[150:151], v[138:139]
	s_mov_b32 s15, 0xbfd6b1d8
	v_fma_f64 v[166:167], s[16:17], v[202:203], v[170:171]
	v_add_f64 v[174:175], v[174:175], v[178:179]
	v_add_f64 v[238:239], v[134:135], -v[154:155]
	v_add_f64 v[224:225], v[128:129], v[156:157]
	v_accvgpr_write_b32 a0, v186
	v_mov_b32_e32 v197, v187
	v_mul_f64 v[186:187], v[240:241], s[24:25]
	v_fma_f64 v[248:249], v[226:227], s[22:23], -v[190:191]
	v_add_f64 v[252:253], v[116:117], v[252:253]
	v_mul_f64 v[0:1], v[204:205], s[34:35]
	v_add_f64 v[198:199], v[146:147], v[142:143]
	s_mov_b32 s11, 0x3fbedb7d
	v_fma_f64 v[164:165], s[14:15], v[200:201], v[168:169]
	v_add_f64 v[166:167], v[166:167], v[174:175]
	v_add_f64 v[236:237], v[138:139], -v[150:151]
	v_add_f64 v[222:223], v[132:133], v[152:153]
	v_mul_f64 v[182:183], v[238:239], s[40:41]
	v_fma_f64 v[188:189], v[224:225], s[20:21], -v[186:187]
	v_add_f64 v[248:249], v[248:249], v[252:253]
	v_fma_f64 v[2:3], s[10:11], v[198:199], v[0:1]
	v_add_f64 v[164:165], v[164:165], v[166:167]
	v_add_f64 v[234:235], v[142:143], -v[146:147]
	v_add_f64 v[218:219], v[148:149], v[136:137]
	v_mul_f64 v[174:175], v[236:237], s[18:19]
	v_fma_f64 v[184:185], v[222:223], s[16:17], -v[182:183]
	v_add_f64 v[188:189], v[188:189], v[248:249]
	v_add_f64 v[166:167], v[2:3], v[164:165]
	;; [unrolled: 1-line block ×3, first 2 shown]
	v_mul_f64 v[2:3], v[234:235], s[34:35]
	v_fma_f64 v[178:179], v[218:219], s[14:15], -v[174:175]
	v_add_f64 v[184:185], v[184:185], v[188:189]
	v_fma_f64 v[164:165], v[216:217], s[10:11], -v[2:3]
	v_add_f64 v[178:179], v[178:179], v[184:185]
	v_add_f64 v[164:165], v[164:165], v[178:179]
	v_fma_f64 v[178:179], v[214:215], s[26:27], -v[180:181]
	v_fma_f64 v[176:177], v[210:211], s[22:23], -v[176:177]
	v_add_f64 v[178:179], v[118:119], v[178:179]
	v_fma_f64 v[172:173], v[206:207], s[20:21], -v[172:173]
	v_add_f64 v[176:177], v[176:177], v[178:179]
	;; [unrolled: 2-line block ×5, first 2 shown]
	v_fmac_f64_e32 v[250:251], s[26:27], v[228:229]
	v_add_f64 v[170:171], v[0:1], v[168:169]
	v_fmac_f64_e32 v[190:191], s[22:23], v[226:227]
	v_add_f64 v[0:1], v[116:117], v[250:251]
	v_mul_f64 v[188:189], v[232:233], s[24:25]
	v_fmac_f64_e32 v[186:187], s[20:21], v[224:225]
	v_add_f64 v[0:1], v[190:191], v[0:1]
	s_mov_b32 s37, 0xbfea55e2
	s_mov_b32 s36, s40
	v_mul_f64 v[184:185], v[230:231], s[34:35]
	v_fma_f64 v[190:191], s[20:21], v[214:215], v[188:189]
	v_fmac_f64_e32 v[182:183], s[16:17], v[222:223]
	v_add_f64 v[0:1], v[186:187], v[0:1]
	s_mov_b32 s45, 0x3fcea1e5
	s_mov_b32 s44, s30
	v_mul_f64 v[180:181], v[220:221], s[36:37]
	v_fma_f64 v[186:187], s[10:11], v[210:211], v[184:185]
	v_add_f64 v[190:191], v[118:119], v[190:191]
	v_mul_f64 v[4:5], v[244:245], s[24:25]
	v_fmac_f64_e32 v[174:175], s[14:15], v[218:219]
	v_add_f64 v[0:1], v[182:183], v[0:1]
	v_mul_f64 v[178:179], v[212:213], s[44:45]
	v_fma_f64 v[182:183], s[16:17], v[206:207], v[180:181]
	v_add_f64 v[186:187], v[186:187], v[190:191]
	v_mul_f64 v[254:255], v[242:243], s[34:35]
	v_fma_f64 v[6:7], v[228:229], s[20:21], -v[4:5]
	v_fmac_f64_e32 v[2:3], s[10:11], v[216:217]
	v_add_f64 v[0:1], v[174:175], v[0:1]
	v_mul_f64 v[176:177], v[208:209], s[28:29]
	v_fma_f64 v[174:175], s[26:27], v[202:203], v[178:179]
	v_add_f64 v[182:183], v[182:183], v[186:187]
	v_mul_f64 v[250:251], v[240:241], s[36:37]
	v_accvgpr_write_b32 a1, v194
	v_accvgpr_write_b32 a34, v195
	v_fma_f64 v[194:195], v[226:227], s[10:11], -v[254:255]
	v_add_f64 v[6:7], v[116:117], v[6:7]
	v_add_f64 v[168:169], v[2:3], v[0:1]
	v_mul_f64 v[0:1], v[204:205], s[18:19]
	v_fma_f64 v[172:173], s[22:23], v[200:201], v[176:177]
	v_add_f64 v[174:175], v[174:175], v[182:183]
	v_mul_f64 v[190:191], v[238:239], s[44:45]
	v_fma_f64 v[252:253], v[224:225], s[16:17], -v[250:251]
	v_add_f64 v[6:7], v[194:195], v[6:7]
	v_fma_f64 v[2:3], s[14:15], v[198:199], v[0:1]
	v_add_f64 v[172:173], v[172:173], v[174:175]
	v_mul_f64 v[182:183], v[236:237], s[28:29]
	v_fma_f64 v[248:249], v[222:223], s[26:27], -v[190:191]
	v_add_f64 v[6:7], v[252:253], v[6:7]
	v_add_f64 v[174:175], v[2:3], v[172:173]
	v_mul_f64 v[2:3], v[234:235], s[18:19]
	v_fma_f64 v[186:187], v[218:219], s[22:23], -v[182:183]
	v_add_f64 v[6:7], v[248:249], v[6:7]
	v_fma_f64 v[172:173], v[216:217], s[14:15], -v[2:3]
	v_add_f64 v[6:7], v[186:187], v[6:7]
	v_add_f64 v[172:173], v[172:173], v[6:7]
	v_fma_f64 v[6:7], v[200:201], s[22:23], -v[176:177]
	v_fma_f64 v[176:177], v[202:203], s[26:27], -v[178:179]
	;; [unrolled: 1-line block ×5, first 2 shown]
	v_add_f64 v[184:185], v[118:119], v[184:185]
	v_add_f64 v[180:181], v[180:181], v[184:185]
	;; [unrolled: 1-line block ×4, first 2 shown]
	v_fma_f64 v[0:1], v[198:199], s[14:15], -v[0:1]
	v_add_f64 v[6:7], v[6:7], v[176:177]
	v_fmac_f64_e32 v[4:5], s[20:21], v[228:229]
	v_add_f64 v[178:179], v[0:1], v[6:7]
	v_fmac_f64_e32 v[254:255], s[10:11], v[226:227]
	;; [unrolled: 2-line block ×3, first 2 shown]
	v_add_f64 v[0:1], v[254:255], v[0:1]
	s_mov_b32 s43, 0x3fe5384d
	s_mov_b32 s42, s24
	v_mul_f64 v[194:195], v[232:233], s[18:19]
	v_fmac_f64_e32 v[190:191], s[26:27], v[222:223]
	v_add_f64 v[0:1], v[250:251], v[0:1]
	v_mul_f64 v[188:189], v[230:231], s[42:43]
	v_fma_f64 v[248:249], s[14:15], v[214:215], v[194:195]
	v_accvgpr_write_b32 a6, v12
	v_fmac_f64_e32 v[182:183], s[22:23], v[218:219]
	v_add_f64 v[0:1], v[190:191], v[0:1]
	s_mov_b32 s39, 0xbfefc445
	s_mov_b32 s38, s34
	v_mul_f64 v[186:187], v[220:221], s[28:29]
	v_fma_f64 v[190:191], s[20:21], v[210:211], v[188:189]
	v_add_f64 v[248:249], v[118:119], v[248:249]
	v_accvgpr_write_b32 a7, v13
	v_accvgpr_write_b32 a8, v14
	;; [unrolled: 1-line block ×3, first 2 shown]
	v_mul_f64 v[12:13], v[244:245], s[18:19]
	v_add_f64 v[0:1], v[182:183], v[0:1]
	v_mul_f64 v[184:185], v[212:213], s[38:39]
	v_fma_f64 v[182:183], s[22:23], v[206:207], v[186:187]
	v_add_f64 v[190:191], v[190:191], v[248:249]
	v_mul_f64 v[8:9], v[242:243], s[42:43]
	v_fma_f64 v[14:15], v[228:229], s[14:15], -v[12:13]
	v_fmac_f64_e32 v[2:3], s[14:15], v[216:217]
	v_mul_f64 v[4:5], v[208:209], s[44:45]
	v_fma_f64 v[180:181], s[10:11], v[202:203], v[184:185]
	v_add_f64 v[182:183], v[182:183], v[190:191]
	v_mul_f64 v[252:253], v[240:241], s[28:29]
	v_fma_f64 v[10:11], v[226:227], s[20:21], -v[8:9]
	v_add_f64 v[14:15], v[116:117], v[14:15]
	v_add_f64 v[176:177], v[2:3], v[0:1]
	v_mul_f64 v[0:1], v[204:205], s[40:41]
	v_fma_f64 v[6:7], s[26:27], v[200:201], v[4:5]
	v_add_f64 v[180:181], v[180:181], v[182:183]
	v_mul_f64 v[248:249], v[238:239], s[38:39]
	v_fma_f64 v[254:255], v[224:225], s[22:23], -v[252:253]
	v_add_f64 v[10:11], v[10:11], v[14:15]
	v_fma_f64 v[2:3], s[16:17], v[198:199], v[0:1]
	v_add_f64 v[6:7], v[6:7], v[180:181]
	v_mul_f64 v[190:191], v[236:237], s[44:45]
	v_fma_f64 v[250:251], v[222:223], s[10:11], -v[248:249]
	v_add_f64 v[10:11], v[254:255], v[10:11]
	v_add_f64 v[182:183], v[2:3], v[6:7]
	v_mul_f64 v[2:3], v[234:235], s[40:41]
	v_fma_f64 v[180:181], v[218:219], s[26:27], -v[190:191]
	v_add_f64 v[10:11], v[250:251], v[10:11]
	v_fma_f64 v[6:7], v[216:217], s[16:17], -v[2:3]
	v_add_f64 v[10:11], v[180:181], v[10:11]
	v_add_f64 v[180:181], v[6:7], v[10:11]
	v_fma_f64 v[6:7], v[202:203], s[10:11], -v[184:185]
	v_fma_f64 v[184:185], v[214:215], s[14:15], -v[194:195]
	;; [unrolled: 1-line block ×3, first 2 shown]
	v_add_f64 v[184:185], v[118:119], v[184:185]
	v_fma_f64 v[10:11], v[206:207], s[22:23], -v[186:187]
	v_add_f64 v[14:15], v[14:15], v[184:185]
	v_add_f64 v[10:11], v[10:11], v[14:15]
	v_fma_f64 v[4:5], v[200:201], s[26:27], -v[4:5]
	v_add_f64 v[6:7], v[6:7], v[10:11]
	v_fma_f64 v[0:1], v[198:199], s[16:17], -v[0:1]
	v_add_f64 v[4:5], v[4:5], v[6:7]
	v_fmac_f64_e32 v[12:13], s[14:15], v[228:229]
	v_add_f64 v[186:187], v[0:1], v[4:5]
	v_fmac_f64_e32 v[8:9], s[20:21], v[226:227]
	;; [unrolled: 2-line block ×5, first 2 shown]
	v_add_f64 v[0:1], v[248:249], v[0:1]
	v_mul_f64 v[248:249], v[232:233], s[38:39]
	v_add_f64 v[0:1], v[190:191], v[0:1]
	s_mov_b32 s41, 0x3fedeba7
	s_mov_b32 s40, s18
	v_mul_f64 v[194:195], v[230:231], s[30:31]
	v_fma_f64 v[190:191], s[10:11], v[214:215], v[248:249]
	v_accvgpr_write_b32 a14, v20
	v_mul_f64 v[12:13], v[220:221], s[40:41]
	v_fma_f64 v[188:189], s[26:27], v[210:211], v[194:195]
	v_add_f64 v[190:191], v[118:119], v[190:191]
	v_accvgpr_write_b32 a2, v16
	v_accvgpr_write_b32 a15, v21
	;; [unrolled: 1-line block ×4, first 2 shown]
	v_mul_f64 v[20:21], v[244:245], s[38:39]
	v_mul_f64 v[8:9], v[212:213], s[28:29]
	v_fma_f64 v[14:15], s[14:15], v[206:207], v[12:13]
	v_add_f64 v[188:189], v[188:189], v[190:191]
	v_accvgpr_write_b32 a3, v17
	v_accvgpr_write_b32 a4, v18
	;; [unrolled: 1-line block ×3, first 2 shown]
	v_mul_f64 v[16:17], v[242:243], s[30:31]
	v_fma_f64 v[22:23], v[228:229], s[10:11], -v[20:21]
	v_fmac_f64_e32 v[2:3], s[16:17], v[216:217]
	v_mul_f64 v[4:5], v[208:209], s[36:37]
	v_fma_f64 v[10:11], s[22:23], v[202:203], v[8:9]
	v_add_f64 v[14:15], v[14:15], v[188:189]
	v_mul_f64 v[254:255], v[240:241], s[40:41]
	v_fma_f64 v[18:19], v[226:227], s[26:27], -v[16:17]
	v_add_f64 v[22:23], v[116:117], v[22:23]
	v_add_f64 v[184:185], v[2:3], v[0:1]
	v_mul_f64 v[0:1], v[204:205], s[24:25]
	v_fma_f64 v[6:7], s[16:17], v[200:201], v[4:5]
	v_add_f64 v[10:11], v[10:11], v[14:15]
	v_mul_f64 v[252:253], v[238:239], s[28:29]
	v_fma_f64 v[250:251], v[224:225], s[14:15], -v[254:255]
	v_add_f64 v[18:19], v[18:19], v[22:23]
	v_fma_f64 v[2:3], s[20:21], v[198:199], v[0:1]
	v_add_f64 v[6:7], v[6:7], v[10:11]
	v_mul_f64 v[10:11], v[236:237], s[36:37]
	v_fma_f64 v[188:189], v[222:223], s[22:23], -v[252:253]
	v_add_f64 v[18:19], v[250:251], v[18:19]
	v_add_f64 v[190:191], v[2:3], v[6:7]
	v_mul_f64 v[2:3], v[234:235], s[24:25]
	v_fma_f64 v[14:15], v[218:219], s[16:17], -v[10:11]
	v_add_f64 v[18:19], v[188:189], v[18:19]
	v_fma_f64 v[6:7], v[216:217], s[20:21], -v[2:3]
	v_add_f64 v[14:15], v[14:15], v[18:19]
	v_add_f64 v[188:189], v[6:7], v[14:15]
	v_fma_f64 v[14:15], v[214:215], s[10:11], -v[248:249]
	v_fma_f64 v[6:7], v[202:203], s[22:23], -v[8:9]
	;; [unrolled: 1-line block ×4, first 2 shown]
	v_add_f64 v[14:15], v[118:119], v[14:15]
	v_add_f64 v[12:13], v[12:13], v[14:15]
	v_add_f64 v[8:9], v[8:9], v[12:13]
	v_fma_f64 v[4:5], v[200:201], s[16:17], -v[4:5]
	v_add_f64 v[6:7], v[6:7], v[8:9]
	v_fma_f64 v[0:1], v[198:199], s[20:21], -v[0:1]
	v_add_f64 v[4:5], v[4:5], v[6:7]
	v_fmac_f64_e32 v[20:21], s[10:11], v[228:229]
	v_add_f64 v[250:251], v[0:1], v[4:5]
	v_fmac_f64_e32 v[16:17], s[26:27], v[226:227]
	v_add_f64 v[0:1], v[116:117], v[20:21]
	v_mul_f64 v[20:21], v[232:233], s[36:37]
	v_fmac_f64_e32 v[254:255], s[14:15], v[224:225]
	v_add_f64 v[0:1], v[16:17], v[0:1]
	v_mul_f64 v[16:17], v[230:231], s[18:19]
	v_fma_f64 v[22:23], s[16:17], v[214:215], v[20:21]
	v_accvgpr_write_b32 a22, v28
	v_fmac_f64_e32 v[252:253], s[22:23], v[222:223]
	v_add_f64 v[0:1], v[254:255], v[0:1]
	v_mul_f64 v[12:13], v[220:221], s[30:31]
	v_fma_f64 v[18:19], s[14:15], v[210:211], v[16:17]
	v_add_f64 v[22:23], v[118:119], v[22:23]
	v_accvgpr_write_b32 a10, v24
	v_accvgpr_write_b32 a23, v29
	;; [unrolled: 1-line block ×4, first 2 shown]
	v_mul_f64 v[28:29], v[244:245], s[36:37]
	v_fmac_f64_e32 v[10:11], s[16:17], v[218:219]
	v_add_f64 v[0:1], v[252:253], v[0:1]
	v_mul_f64 v[8:9], v[212:213], s[42:43]
	v_fma_f64 v[14:15], s[26:27], v[206:207], v[12:13]
	v_add_f64 v[18:19], v[18:19], v[22:23]
	v_accvgpr_write_b32 a11, v25
	v_accvgpr_write_b32 a12, v26
	;; [unrolled: 1-line block ×3, first 2 shown]
	v_mul_f64 v[24:25], v[242:243], s[18:19]
	v_fma_f64 v[30:31], v[228:229], s[16:17], -v[28:29]
	v_fmac_f64_e32 v[2:3], s[20:21], v[216:217]
	v_add_f64 v[0:1], v[10:11], v[0:1]
	v_mul_f64 v[4:5], v[208:209], s[34:35]
	v_fma_f64 v[10:11], s[20:21], v[202:203], v[8:9]
	v_add_f64 v[14:15], v[14:15], v[18:19]
	v_mul_f64 v[194:195], v[240:241], s[30:31]
	v_fma_f64 v[26:27], v[226:227], s[14:15], -v[24:25]
	v_add_f64 v[30:31], v[116:117], v[30:31]
	v_add_f64 v[248:249], v[2:3], v[0:1]
	v_mul_f64 v[0:1], v[204:205], s[28:29]
	v_fma_f64 v[6:7], s[10:11], v[200:201], v[4:5]
	v_add_f64 v[10:11], v[10:11], v[14:15]
	v_mul_f64 v[18:19], v[238:239], s[42:43]
	v_fma_f64 v[252:253], v[224:225], s[26:27], -v[194:195]
	v_add_f64 v[26:27], v[26:27], v[30:31]
	v_fma_f64 v[2:3], s[22:23], v[198:199], v[0:1]
	v_add_f64 v[6:7], v[6:7], v[10:11]
	v_mul_f64 v[10:11], v[236:237], s[34:35]
	v_fma_f64 v[22:23], v[222:223], s[20:21], -v[18:19]
	v_add_f64 v[26:27], v[252:253], v[26:27]
	v_add_f64 v[254:255], v[2:3], v[6:7]
	v_mul_f64 v[6:7], v[234:235], s[28:29]
	v_fma_f64 v[14:15], v[218:219], s[10:11], -v[10:11]
	v_add_f64 v[22:23], v[22:23], v[26:27]
	v_fma_f64 v[2:3], v[216:217], s[22:23], -v[6:7]
	v_add_f64 v[14:15], v[14:15], v[22:23]
	v_add_f64 v[252:253], v[2:3], v[14:15]
	v_fma_f64 v[14:15], v[214:215], s[16:17], -v[20:21]
	v_fma_f64 v[2:3], v[200:201], s[10:11], -v[4:5]
	;; [unrolled: 1-line block ×5, first 2 shown]
	v_add_f64 v[14:15], v[118:119], v[14:15]
	v_add_f64 v[12:13], v[12:13], v[14:15]
	;; [unrolled: 1-line block ×4, first 2 shown]
	v_fma_f64 v[0:1], v[198:199], s[22:23], -v[0:1]
	v_add_f64 v[2:3], v[2:3], v[4:5]
	v_fmac_f64_e32 v[28:29], s[16:17], v[228:229]
	v_add_f64 v[2:3], v[0:1], v[2:3]
	v_fmac_f64_e32 v[24:25], s[14:15], v[226:227]
	v_add_f64 v[0:1], v[116:117], v[28:29]
	s_mov_b32 s29, 0xbfddbe06
	v_add_f64 v[0:1], v[24:25], v[0:1]
	v_mul_f64 v[24:25], v[232:233], s[28:29]
	v_fmac_f64_e32 v[194:195], s[26:27], v[224:225]
	v_mul_f64 v[20:21], v[230:231], s[36:37]
	v_fma_f64 v[26:27], s[22:23], v[214:215], v[24:25]
	v_fmac_f64_e32 v[18:19], s[20:21], v[222:223]
	v_add_f64 v[0:1], v[194:195], v[0:1]
	v_mul_f64 v[8:9], v[208:209], s[24:25]
	v_mul_f64 v[16:17], v[220:221], s[38:39]
	v_fma_f64 v[22:23], s[16:17], v[210:211], v[20:21]
	v_add_f64 v[26:27], v[118:119], v[26:27]
	v_mul_f64 v[208:209], v[244:245], s[28:29]
	v_add_f64 v[0:1], v[18:19], v[0:1]
	v_mul_f64 v[12:13], v[212:213], s[18:19]
	v_fma_f64 v[18:19], s[10:11], v[206:207], v[16:17]
	v_add_f64 v[22:23], v[22:23], v[26:27]
	v_mul_f64 v[194:195], v[242:243], s[36:37]
	v_fma_f64 v[212:213], v[228:229], s[22:23], -v[208:209]
	v_fmac_f64_e32 v[10:11], s[10:11], v[218:219]
	v_mul_f64 v[4:5], v[204:205], s[30:31]
	v_fma_f64 v[14:15], s[14:15], v[202:203], v[12:13]
	v_add_f64 v[18:19], v[18:19], v[22:23]
	v_mul_f64 v[28:29], v[240:241], s[38:39]
	v_fma_f64 v[204:205], v[226:227], s[16:17], -v[194:195]
	v_add_f64 v[212:213], v[116:117], v[212:213]
	v_fmac_f64_e32 v[6:7], s[22:23], v[216:217]
	v_add_f64 v[0:1], v[10:11], v[0:1]
	v_fma_f64 v[10:11], s[20:21], v[200:201], v[8:9]
	v_add_f64 v[14:15], v[14:15], v[18:19]
	v_mul_f64 v[22:23], v[238:239], s[18:19]
	v_fma_f64 v[30:31], v[224:225], s[10:11], -v[28:29]
	v_add_f64 v[204:205], v[204:205], v[212:213]
	v_add_f64 v[0:1], v[6:7], v[0:1]
	v_fma_f64 v[6:7], s[26:27], v[198:199], v[4:5]
	v_add_f64 v[10:11], v[10:11], v[14:15]
	v_mul_f64 v[14:15], v[236:237], s[24:25]
	v_fma_f64 v[26:27], v[222:223], s[14:15], -v[22:23]
	v_add_f64 v[30:31], v[30:31], v[204:205]
	v_add_f64 v[232:233], v[6:7], v[10:11]
	v_mul_f64 v[6:7], v[234:235], s[30:31]
	v_fma_f64 v[18:19], v[218:219], s[20:21], -v[14:15]
	v_add_f64 v[26:27], v[26:27], v[30:31]
	v_fma_f64 v[10:11], v[216:217], s[26:27], -v[6:7]
	v_add_f64 v[18:19], v[18:19], v[26:27]
	v_add_f64 v[230:231], v[10:11], v[18:19]
	v_fma_f64 v[18:19], v[214:215], s[22:23], -v[24:25]
	v_fma_f64 v[10:11], v[202:203], s[14:15], -v[12:13]
	;; [unrolled: 1-line block ×4, first 2 shown]
	v_add_f64 v[18:19], v[118:119], v[18:19]
	v_add_f64 v[16:17], v[16:17], v[18:19]
	;; [unrolled: 1-line block ×3, first 2 shown]
	v_fma_f64 v[8:9], v[200:201], s[20:21], -v[8:9]
	v_add_f64 v[10:11], v[10:11], v[12:13]
	v_fma_f64 v[4:5], v[198:199], s[26:27], -v[4:5]
	v_add_f64 v[8:9], v[8:9], v[10:11]
	v_fmac_f64_e32 v[208:209], s[22:23], v[228:229]
	v_add_f64 v[200:201], v[4:5], v[8:9]
	v_fmac_f64_e32 v[194:195], s[16:17], v[226:227]
	;; [unrolled: 2-line block ×6, first 2 shown]
	v_add_f64 v[4:5], v[14:15], v[4:5]
	v_add_f64 v[198:199], v[6:7], v[4:5]
	;; [unrolled: 1-line block ×26, first 2 shown]
	v_lshlrev_b32_e32 v4, 4, v197
	v_accvgpr_read_b32 v205, a33
	v_accvgpr_read_b32 v27, a13
	;; [unrolled: 1-line block ×7, first 2 shown]
	ds_write_b128 v4, v[116:119]
	ds_write_b128 v4, v[198:201] offset:16
	v_accvgpr_read_b32 v201, a29
	v_accvgpr_read_b32 v204, a32
	v_accvgpr_read_b32 v203, a31
	v_accvgpr_read_b32 v202, a30
	v_accvgpr_read_b32 v207, a36
	v_accvgpr_read_b32 v206, a35
	v_accvgpr_read_b32 v26, a12
	v_accvgpr_read_b32 v25, a11
	v_accvgpr_read_b32 v24, a10
	v_accvgpr_read_b32 v18, a4
	v_accvgpr_read_b32 v17, a3
	v_accvgpr_read_b32 v16, a2
	v_accvgpr_read_b32 v209, a38
	v_accvgpr_read_b32 v208, a37
	v_accvgpr_read_b32 v195, a34
	v_accvgpr_read_b32 v194, a1
	v_accvgpr_read_b32 v30, a24
	v_accvgpr_read_b32 v29, a23
	v_accvgpr_read_b32 v28, a22
	v_accvgpr_read_b32 v22, a16
	v_accvgpr_read_b32 v21, a15
	v_accvgpr_read_b32 v20, a14
	v_accvgpr_read_b32 v14, a8
	v_accvgpr_read_b32 v13, a7
	v_accvgpr_read_b32 v12, a6
	v_accvgpr_read_b32 v34, a20
	v_accvgpr_read_b32 v33, a19
	v_accvgpr_read_b32 v32, a18
	v_accvgpr_read_b32 v200, a28
	v_accvgpr_read_b32 v199, a27
	v_accvgpr_read_b32 v198, a26
	ds_write_b128 v4, v[0:3] offset:32
	ds_write_b128 v4, v[248:251] offset:48
	;; [unrolled: 1-line block ×3, first 2 shown]
	v_accvgpr_read_b32 v186, a0
	ds_write_b128 v4, v[176:179] offset:80
	ds_write_b128 v4, v[168:171] offset:96
	;; [unrolled: 1-line block ×8, first 2 shown]
.LBB0_13:
	s_or_b64 exec, exec, s[0:1]
	s_waitcnt lgkmcnt(0)
	s_barrier
	ds_read_b128 v[0:3], v193
	ds_read_b128 v[116:119], v193 offset:2496
	ds_read_b128 v[128:131], v193 offset:9984
	;; [unrolled: 1-line block ×11, first 2 shown]
	s_waitcnt lgkmcnt(9)
	v_mul_f64 v[10:11], v[14:15], v[130:131]
	v_mul_f64 v[4:5], v[14:15], v[128:129]
	v_fmac_f64_e32 v[10:11], v[12:13], v[128:129]
	v_fma_f64 v[12:13], v[12:13], v[130:131], -v[4:5]
	s_waitcnt lgkmcnt(7)
	v_mul_f64 v[14:15], v[18:19], v[138:139]
	v_mul_f64 v[4:5], v[18:19], v[136:137]
	v_fmac_f64_e32 v[14:15], v[16:17], v[136:137]
	v_fma_f64 v[16:17], v[16:17], v[138:139], -v[4:5]
	v_mul_f64 v[18:19], v[22:23], v[134:135]
	v_mul_f64 v[4:5], v[22:23], v[132:133]
	v_fmac_f64_e32 v[18:19], v[20:21], v[132:133]
	v_fma_f64 v[20:21], v[20:21], v[134:135], -v[4:5]
	s_waitcnt lgkmcnt(6)
	v_mul_f64 v[22:23], v[26:27], v[142:143]
	v_mul_f64 v[4:5], v[26:27], v[140:141]
	v_fmac_f64_e32 v[22:23], v[24:25], v[140:141]
	v_fma_f64 v[24:25], v[24:25], v[142:143], -v[4:5]
	s_waitcnt lgkmcnt(3)
	;; [unrolled: 5-line block ×3, first 2 shown]
	v_mul_f64 v[4:5], v[34:35], v[152:153]
	v_fma_f64 v[128:129], v[32:33], v[154:155], -v[4:5]
	v_mul_f64 v[4:5], v[204:205], v[148:149]
	v_mul_f64 v[30:31], v[34:35], v[154:155]
	v_fma_f64 v[34:35], v[202:203], v[150:151], -v[4:5]
	s_waitcnt lgkmcnt(0)
	v_mul_f64 v[4:5], v[200:201], v[156:157]
	v_add_f64 v[6:7], v[10:11], v[14:15]
	s_mov_b32 s10, 0xe8584caa
	v_fma_f64 v[134:135], v[198:199], v[158:159], -v[4:5]
	v_add_f64 v[4:5], v[0:1], v[10:11]
	v_fmac_f64_e32 v[0:1], -0.5, v[6:7]
	v_add_f64 v[6:7], v[12:13], -v[16:17]
	s_mov_b32 s11, 0xbfebb67a
	s_mov_b32 s1, 0x3febb67a
	;; [unrolled: 1-line block ×3, first 2 shown]
	v_fma_f64 v[8:9], s[10:11], v[6:7], v[0:1]
	v_fmac_f64_e32 v[0:1], s[0:1], v[6:7]
	v_add_f64 v[6:7], v[2:3], v[12:13]
	v_add_f64 v[12:13], v[12:13], v[16:17]
	;; [unrolled: 1-line block ×3, first 2 shown]
	v_fmac_f64_e32 v[2:3], -0.5, v[12:13]
	v_add_f64 v[12:13], v[10:11], -v[14:15]
	v_add_f64 v[14:15], v[18:19], v[22:23]
	v_fma_f64 v[10:11], s[0:1], v[12:13], v[2:3]
	v_fmac_f64_e32 v[2:3], s[10:11], v[12:13]
	v_add_f64 v[12:13], v[116:117], v[18:19]
	v_fmac_f64_e32 v[116:117], -0.5, v[14:15]
	v_add_f64 v[14:15], v[20:21], -v[24:25]
	v_fmac_f64_e32 v[30:31], v[32:33], v[152:153]
	v_add_f64 v[6:7], v[6:7], v[16:17]
	v_fma_f64 v[16:17], s[10:11], v[14:15], v[116:117]
	v_fmac_f64_e32 v[116:117], s[0:1], v[14:15]
	v_add_f64 v[14:15], v[118:119], v[20:21]
	v_add_f64 v[20:21], v[20:21], v[24:25]
	;; [unrolled: 1-line block ×3, first 2 shown]
	v_fmac_f64_e32 v[118:119], -0.5, v[20:21]
	v_add_f64 v[20:21], v[18:19], -v[22:23]
	v_add_f64 v[22:23], v[26:27], v[30:31]
	v_mul_f64 v[130:131], v[204:205], v[150:151]
	v_mul_f64 v[132:133], v[200:201], v[158:159]
	v_fma_f64 v[18:19], s[0:1], v[20:21], v[118:119]
	v_fmac_f64_e32 v[118:119], s[10:11], v[20:21]
	v_add_f64 v[20:21], v[120:121], v[26:27]
	v_fmac_f64_e32 v[120:121], -0.5, v[22:23]
	v_add_f64 v[22:23], v[28:29], -v[128:129]
	v_fmac_f64_e32 v[130:131], v[202:203], v[148:149]
	v_fmac_f64_e32 v[132:133], v[198:199], v[156:157]
	v_add_f64 v[14:15], v[14:15], v[24:25]
	v_fma_f64 v[24:25], s[10:11], v[22:23], v[120:121]
	v_fmac_f64_e32 v[120:121], s[0:1], v[22:23]
	v_add_f64 v[22:23], v[122:123], v[28:29]
	v_add_f64 v[28:29], v[28:29], v[128:129]
	;; [unrolled: 1-line block ×3, first 2 shown]
	v_fmac_f64_e32 v[122:123], -0.5, v[28:29]
	v_add_f64 v[28:29], v[26:27], -v[30:31]
	v_add_f64 v[30:31], v[130:131], v[132:133]
	v_fma_f64 v[26:27], s[0:1], v[28:29], v[122:123]
	v_fmac_f64_e32 v[122:123], s[10:11], v[28:29]
	v_add_f64 v[28:29], v[124:125], v[130:131]
	v_fmac_f64_e32 v[124:125], -0.5, v[30:31]
	v_add_f64 v[30:31], v[34:35], -v[134:135]
	v_fma_f64 v[32:33], s[10:11], v[30:31], v[124:125]
	v_fmac_f64_e32 v[124:125], s[0:1], v[30:31]
	v_add_f64 v[30:31], v[126:127], v[34:35]
	v_add_f64 v[34:35], v[34:35], v[134:135]
	;; [unrolled: 1-line block ×3, first 2 shown]
	v_fmac_f64_e32 v[126:127], -0.5, v[34:35]
	v_add_f64 v[128:129], v[130:131], -v[132:133]
	v_add_f64 v[28:29], v[28:29], v[132:133]
	v_add_f64 v[30:31], v[30:31], v[134:135]
	v_fma_f64 v[34:35], s[0:1], v[128:129], v[126:127]
	v_fmac_f64_e32 v[126:127], s[10:11], v[128:129]
	s_barrier
	ds_write_b128 v194, v[4:7]
	ds_write_b128 v194, v[8:11] offset:208
	ds_write_b128 v194, v[0:3] offset:416
	ds_write_b128 v195, v[12:15]
	ds_write_b128 v195, v[16:19] offset:208
	ds_write_b128 v195, v[116:119] offset:416
	;; [unrolled: 3-line block ×4, first 2 shown]
	s_waitcnt lgkmcnt(0)
	s_barrier
	ds_read_b128 v[0:3], v193
	ds_read_b128 v[4:7], v193 offset:2496
	ds_read_b128 v[8:11], v193 offset:14976
	;; [unrolled: 1-line block ×11, first 2 shown]
	s_waitcnt lgkmcnt(7)
	v_mul_f64 v[128:129], v[42:43], v[18:19]
	v_fmac_f64_e32 v[128:129], v[40:41], v[16:17]
	v_mul_f64 v[16:17], v[42:43], v[16:17]
	v_fma_f64 v[16:17], v[40:41], v[18:19], -v[16:17]
	v_mul_f64 v[18:19], v[38:39], v[10:11]
	v_fmac_f64_e32 v[18:19], v[36:37], v[8:9]
	v_mul_f64 v[8:9], v[38:39], v[8:9]
	v_fma_f64 v[8:9], v[36:37], v[10:11], -v[8:9]
	s_waitcnt lgkmcnt(3)
	v_mul_f64 v[10:11], v[46:47], v[34:35]
	v_fmac_f64_e32 v[10:11], v[44:45], v[32:33]
	v_mul_f64 v[32:33], v[46:47], v[32:33]
	v_fma_f64 v[32:33], v[44:45], v[34:35], -v[32:33]
	v_mul_f64 v[34:35], v[58:59], v[26:27]
	v_fmac_f64_e32 v[34:35], v[56:57], v[24:25]
	v_mul_f64 v[24:25], v[58:59], v[24:25]
	v_fma_f64 v[24:25], v[56:57], v[26:27], -v[24:25]
	;; [unrolled: 4-line block ×3, first 2 shown]
	s_waitcnt lgkmcnt(1)
	v_mul_f64 v[12:13], v[50:51], v[120:121]
	v_fma_f64 v[40:41], v[48:49], v[122:123], -v[12:13]
	v_mul_f64 v[12:13], v[70:71], v[28:29]
	v_mul_f64 v[38:39], v[50:51], v[122:123]
	;; [unrolled: 1-line block ×3, first 2 shown]
	v_fma_f64 v[44:45], v[68:69], v[30:31], -v[12:13]
	v_mul_f64 v[12:13], v[66:67], v[116:117]
	v_fmac_f64_e32 v[38:39], v[48:49], v[120:121]
	v_fmac_f64_e32 v[42:43], v[68:69], v[28:29]
	v_fma_f64 v[48:49], v[64:65], v[118:119], -v[12:13]
	s_waitcnt lgkmcnt(0)
	v_mul_f64 v[12:13], v[62:63], v[124:125]
	v_add_f64 v[28:29], v[2:3], -v[8:9]
	v_add_f64 v[30:31], v[16:17], -v[32:33]
	v_fma_f64 v[52:53], v[60:61], v[126:127], -v[12:13]
	v_fma_f64 v[12:13], v[2:3], 2.0, -v[28:29]
	v_fma_f64 v[2:3], v[16:17], 2.0, -v[30:31]
	v_add_f64 v[18:19], v[0:1], -v[18:19]
	v_add_f64 v[14:15], v[128:129], -v[10:11]
	v_add_f64 v[2:3], v[12:13], -v[2:3]
	v_mul_f64 v[46:47], v[66:67], v[118:119]
	v_mul_f64 v[50:51], v[62:63], v[126:127]
	v_fma_f64 v[8:9], v[0:1], 2.0, -v[18:19]
	v_fma_f64 v[0:1], v[128:129], 2.0, -v[14:15]
	;; [unrolled: 1-line block ×3, first 2 shown]
	v_add_f64 v[12:13], v[18:19], v[30:31]
	v_add_f64 v[14:15], v[28:29], -v[14:15]
	v_add_f64 v[32:33], v[4:5], -v[26:27]
	;; [unrolled: 1-line block ×5, first 2 shown]
	v_fmac_f64_e32 v[46:47], v[64:65], v[116:117]
	v_fmac_f64_e32 v[50:51], v[60:61], v[124:125]
	v_fma_f64 v[16:17], v[18:19], 2.0, -v[12:13]
	v_fma_f64 v[18:19], v[28:29], 2.0, -v[14:15]
	;; [unrolled: 1-line block ×6, first 2 shown]
	v_add_f64 v[4:5], v[26:27], -v[4:5]
	v_add_f64 v[6:7], v[28:29], -v[6:7]
	;; [unrolled: 1-line block ×7, first 2 shown]
	v_fma_f64 v[24:25], v[26:27], 2.0, -v[4:5]
	v_fma_f64 v[26:27], v[28:29], 2.0, -v[6:7]
	v_add_f64 v[28:29], v[32:33], v[38:39]
	v_fma_f64 v[34:35], v[36:37], 2.0, -v[30:31]
	v_fma_f64 v[36:37], v[20:21], 2.0, -v[46:47]
	;; [unrolled: 1-line block ×5, first 2 shown]
	v_add_f64 v[0:1], v[8:9], -v[0:1]
	v_add_f64 v[20:21], v[36:37], -v[20:21]
	;; [unrolled: 1-line block ×3, first 2 shown]
	v_add_f64 v[40:41], v[46:47], v[40:41]
	v_add_f64 v[42:43], v[48:49], -v[50:51]
	v_fma_f64 v[8:9], v[8:9], 2.0, -v[0:1]
	v_fma_f64 v[32:33], v[32:33], 2.0, -v[28:29]
	;; [unrolled: 1-line block ×6, first 2 shown]
	s_barrier
	ds_write_b128 v208, v[8:11]
	ds_write_b128 v208, v[16:19] offset:624
	ds_write_b128 v208, v[0:3] offset:1248
	ds_write_b128 v208, v[12:15] offset:1872
	ds_write_b128 v209, v[24:27]
	ds_write_b128 v209, v[32:35] offset:624
	ds_write_b128 v209, v[4:7] offset:1248
	ds_write_b128 v209, v[28:31] offset:1872
	;; [unrolled: 4-line block ×3, first 2 shown]
	s_waitcnt lgkmcnt(0)
	s_barrier
	ds_read_b128 v[4:7], v193
	ds_read_b128 v[0:3], v193 offset:2496
	ds_read_b128 v[8:11], v193 offset:4992
	;; [unrolled: 1-line block ×11, first 2 shown]
	s_waitcnt lgkmcnt(9)
	v_mul_f64 v[48:49], v[86:87], v[10:11]
	v_fmac_f64_e32 v[48:49], v[84:85], v[8:9]
	v_mul_f64 v[8:9], v[86:87], v[8:9]
	v_fma_f64 v[50:51], v[84:85], v[10:11], -v[8:9]
	s_waitcnt lgkmcnt(7)
	v_mul_f64 v[8:9], v[82:83], v[18:19]
	v_fmac_f64_e32 v[8:9], v[80:81], v[16:17]
	v_mul_f64 v[10:11], v[82:83], v[16:17]
	s_waitcnt lgkmcnt(5)
	v_mul_f64 v[16:17], v[78:79], v[26:27]
	v_fma_f64 v[10:11], v[80:81], v[18:19], -v[10:11]
	v_fmac_f64_e32 v[16:17], v[76:77], v[24:25]
	v_mul_f64 v[18:19], v[78:79], v[24:25]
	s_waitcnt lgkmcnt(3)
	v_mul_f64 v[24:25], v[74:75], v[34:35]
	v_fma_f64 v[18:19], v[76:77], v[26:27], -v[18:19]
	;; [unrolled: 5-line block ×3, first 2 shown]
	v_fmac_f64_e32 v[32:33], v[88:89], v[40:41]
	v_mul_f64 v[34:35], v[90:91], v[40:41]
	v_mul_f64 v[40:41], v[86:87], v[14:15]
	v_fmac_f64_e32 v[40:41], v[84:85], v[12:13]
	v_mul_f64 v[12:13], v[86:87], v[12:13]
	v_fma_f64 v[34:35], v[88:89], v[42:43], -v[34:35]
	v_fma_f64 v[42:43], v[84:85], v[14:15], -v[12:13]
	v_mul_f64 v[12:13], v[82:83], v[20:21]
	v_fma_f64 v[54:55], v[80:81], v[22:23], -v[12:13]
	v_mul_f64 v[56:57], v[78:79], v[30:31]
	v_mul_f64 v[12:13], v[78:79], v[28:29]
	v_fmac_f64_e32 v[56:57], v[76:77], v[28:29]
	v_fma_f64 v[28:29], v[76:77], v[30:31], -v[12:13]
	v_mul_f64 v[30:31], v[74:75], v[38:39]
	v_mul_f64 v[12:13], v[74:75], v[36:37]
	v_fmac_f64_e32 v[30:31], v[72:73], v[36:37]
	v_fma_f64 v[36:37], v[72:73], v[38:39], -v[12:13]
	s_waitcnt lgkmcnt(0)
	v_mul_f64 v[38:39], v[90:91], v[46:47]
	v_mul_f64 v[12:13], v[90:91], v[44:45]
	;; [unrolled: 1-line block ×3, first 2 shown]
	v_fmac_f64_e32 v[38:39], v[88:89], v[44:45]
	v_fma_f64 v[44:45], v[88:89], v[46:47], -v[12:13]
	v_add_f64 v[12:13], v[4:5], v[8:9]
	v_fmac_f64_e32 v[52:53], v[80:81], v[20:21]
	v_add_f64 v[20:21], v[12:13], v[24:25]
	v_add_f64 v[12:13], v[8:9], v[24:25]
	v_fmac_f64_e32 v[4:5], -0.5, v[12:13]
	v_add_f64 v[12:13], v[10:11], -v[26:27]
	v_fma_f64 v[22:23], s[10:11], v[12:13], v[4:5]
	v_fmac_f64_e32 v[4:5], s[0:1], v[12:13]
	v_add_f64 v[12:13], v[6:7], v[10:11]
	v_add_f64 v[10:11], v[10:11], v[26:27]
	v_fmac_f64_e32 v[6:7], -0.5, v[10:11]
	v_add_f64 v[8:9], v[8:9], -v[24:25]
	v_add_f64 v[46:47], v[12:13], v[26:27]
	v_fma_f64 v[26:27], s[0:1], v[8:9], v[6:7]
	v_fmac_f64_e32 v[6:7], s[10:11], v[8:9]
	v_add_f64 v[8:9], v[48:49], v[16:17]
	v_add_f64 v[24:25], v[8:9], v[32:33]
	;; [unrolled: 1-line block ×3, first 2 shown]
	v_fmac_f64_e32 v[48:49], -0.5, v[8:9]
	v_add_f64 v[8:9], v[18:19], -v[34:35]
	v_fma_f64 v[14:15], s[10:11], v[8:9], v[48:49]
	v_fmac_f64_e32 v[48:49], s[0:1], v[8:9]
	v_add_f64 v[8:9], v[50:51], v[18:19]
	v_add_f64 v[58:59], v[8:9], v[34:35]
	;; [unrolled: 1-line block ×3, first 2 shown]
	v_fmac_f64_e32 v[50:51], -0.5, v[8:9]
	v_add_f64 v[8:9], v[16:17], -v[32:33]
	v_fma_f64 v[18:19], s[0:1], v[8:9], v[50:51]
	v_mul_f64 v[32:33], v[18:19], s[10:11]
	v_fmac_f64_e32 v[32:33], 0.5, v[14:15]
	v_fmac_f64_e32 v[50:51], s[10:11], v[8:9]
	v_add_f64 v[8:9], v[20:21], v[24:25]
	v_add_f64 v[12:13], v[22:23], v[32:33]
	v_add_f64 v[20:21], v[20:21], -v[24:25]
	v_add_f64 v[24:25], v[22:23], -v[32:33]
	v_add_f64 v[32:33], v[0:1], v[52:53]
	v_add_f64 v[10:11], v[46:47], v[58:59]
	v_add_f64 v[22:23], v[46:47], -v[58:59]
	v_add_f64 v[46:47], v[32:33], v[30:31]
	v_add_f64 v[32:33], v[52:53], v[30:31]
	v_mul_f64 v[34:35], v[50:51], s[10:11]
	v_mul_f64 v[50:51], v[50:51], -0.5
	v_fmac_f64_e32 v[0:1], -0.5, v[32:33]
	v_add_f64 v[32:33], v[54:55], -v[36:37]
	v_fmac_f64_e32 v[34:35], -0.5, v[48:49]
	v_fmac_f64_e32 v[50:51], s[0:1], v[48:49]
	v_fma_f64 v[48:49], s[10:11], v[32:33], v[0:1]
	v_fmac_f64_e32 v[0:1], s[0:1], v[32:33]
	v_add_f64 v[32:33], v[2:3], v[54:55]
	v_mul_f64 v[60:61], v[18:19], 0.5
	v_add_f64 v[18:19], v[6:7], v[50:51]
	v_add_f64 v[6:7], v[6:7], -v[50:51]
	v_add_f64 v[50:51], v[32:33], v[36:37]
	v_add_f64 v[32:33], v[54:55], v[36:37]
	v_fmac_f64_e32 v[2:3], -0.5, v[32:33]
	v_add_f64 v[30:31], v[52:53], -v[30:31]
	v_fma_f64 v[52:53], s[0:1], v[30:31], v[2:3]
	v_fmac_f64_e32 v[2:3], s[10:11], v[30:31]
	v_add_f64 v[30:31], v[40:41], v[56:57]
	v_add_f64 v[54:55], v[30:31], v[38:39]
	;; [unrolled: 1-line block ×3, first 2 shown]
	v_fmac_f64_e32 v[40:41], -0.5, v[30:31]
	v_add_f64 v[30:31], v[28:29], -v[44:45]
	v_add_f64 v[16:17], v[4:5], v[34:35]
	v_add_f64 v[4:5], v[4:5], -v[34:35]
	v_fma_f64 v[34:35], s[10:11], v[30:31], v[40:41]
	v_fmac_f64_e32 v[40:41], s[0:1], v[30:31]
	v_add_f64 v[30:31], v[42:43], v[28:29]
	v_add_f64 v[28:29], v[28:29], v[44:45]
	v_fmac_f64_e32 v[42:43], -0.5, v[28:29]
	v_add_f64 v[28:29], v[56:57], -v[38:39]
	v_fmac_f64_e32 v[60:61], s[0:1], v[14:15]
	v_fma_f64 v[38:39], s[0:1], v[28:29], v[42:43]
	v_fmac_f64_e32 v[42:43], s[10:11], v[28:29]
	v_add_f64 v[14:15], v[26:27], v[60:61]
	v_add_f64 v[26:27], v[26:27], -v[60:61]
	v_add_f64 v[58:59], v[30:31], v[44:45]
	v_mul_f64 v[44:45], v[38:39], s[10:11]
	v_mul_f64 v[56:57], v[42:43], s[10:11]
	v_mul_f64 v[60:61], v[38:39], 0.5
	v_mul_f64 v[62:63], v[42:43], -0.5
	v_fmac_f64_e32 v[44:45], 0.5, v[34:35]
	v_fmac_f64_e32 v[56:57], -0.5, v[40:41]
	v_fmac_f64_e32 v[60:61], s[0:1], v[34:35]
	v_fmac_f64_e32 v[62:63], s[0:1], v[40:41]
	v_add_f64 v[28:29], v[46:47], v[54:55]
	v_add_f64 v[32:33], v[48:49], v[44:45]
	;; [unrolled: 1-line block ×6, first 2 shown]
	v_add_f64 v[40:41], v[46:47], -v[54:55]
	v_add_f64 v[44:45], v[48:49], -v[44:45]
	;; [unrolled: 1-line block ×6, first 2 shown]
	s_barrier
	ds_write_b128 v193, v[8:11]
	ds_write_b128 v193, v[12:15] offset:2496
	ds_write_b128 v193, v[16:19] offset:4992
	;; [unrolled: 1-line block ×11, first 2 shown]
	s_waitcnt lgkmcnt(0)
	s_barrier
	ds_read_b128 v[0:3], v193
	ds_read_b128 v[4:7], v193 offset:2496
	ds_read_b128 v[8:11], v193 offset:14976
	;; [unrolled: 1-line block ×11, first 2 shown]
	s_waitcnt lgkmcnt(9)
	v_mul_f64 v[48:49], v[94:95], v[10:11]
	v_fmac_f64_e32 v[48:49], v[92:93], v[8:9]
	v_mul_f64 v[8:9], v[94:95], v[8:9]
	v_fma_f64 v[10:11], v[92:93], v[10:11], -v[8:9]
	s_waitcnt lgkmcnt(8)
	v_mul_f64 v[8:9], v[98:99], v[12:13]
	v_mul_f64 v[50:51], v[98:99], v[14:15]
	v_fma_f64 v[14:15], v[96:97], v[14:15], -v[8:9]
	s_waitcnt lgkmcnt(5)
	v_mul_f64 v[8:9], v[102:103], v[24:25]
	;; [unrolled: 4-line block ×5, first 2 shown]
	v_mul_f64 v[8:9], v[114:115], v[44:45]
	v_fmac_f64_e32 v[50:51], v[96:97], v[12:13]
	v_fmac_f64_e32 v[52:53], v[100:101], v[24:25]
	;; [unrolled: 1-line block ×5, first 2 shown]
	v_fma_f64 v[46:47], v[112:113], v[46:47], -v[8:9]
	v_add_f64 v[8:9], v[0:1], -v[48:49]
	v_add_f64 v[10:11], v[2:3], -v[10:11]
	v_fma_f64 v[0:1], v[0:1], 2.0, -v[8:9]
	v_fma_f64 v[2:3], v[2:3], 2.0, -v[10:11]
	v_add_f64 v[12:13], v[4:5], -v[50:51]
	v_add_f64 v[14:15], v[6:7], -v[14:15]
	;; [unrolled: 1-line block ×10, first 2 shown]
	v_fma_f64 v[4:5], v[4:5], 2.0, -v[12:13]
	v_fma_f64 v[6:7], v[6:7], 2.0, -v[14:15]
	v_fma_f64 v[16:17], v[16:17], 2.0, -v[24:25]
	v_fma_f64 v[18:19], v[18:19], 2.0, -v[26:27]
	v_fma_f64 v[20:21], v[20:21], 2.0, -v[28:29]
	v_fma_f64 v[22:23], v[22:23], 2.0, -v[30:31]
	v_fma_f64 v[32:33], v[32:33], 2.0, -v[40:41]
	v_fma_f64 v[34:35], v[34:35], 2.0, -v[42:43]
	v_fma_f64 v[36:37], v[36:37], 2.0, -v[44:45]
	v_fma_f64 v[38:39], v[38:39], 2.0, -v[46:47]
	ds_write_b128 v193, v[0:3]
	ds_write_b128 v193, v[8:11] offset:14976
	ds_write_b128 v193, v[4:7] offset:2496
	;; [unrolled: 1-line block ×11, first 2 shown]
	s_waitcnt lgkmcnt(0)
	s_barrier
	s_and_b64 exec, exec, s[2:3]
	s_cbranch_execz .LBB0_15
; %bb.14:
	global_load_dwordx4 v[0:3], v196, s[12:13]
	global_load_dwordx4 v[4:7], v196, s[12:13] offset:2304
	v_mov_b32_e32 v197, 0
	s_movk_i32 s0, 0x1000
	v_lshl_add_u64 v[20:21], s[12:13], 0, v[196:197]
	v_add_co_u32_e32 v16, vcc, s0, v20
	v_mad_u64_u32 v[58:59], s[2:3], s4, v192, 0
	s_nop 0
	v_addc_co_u32_e32 v17, vcc, 0, v21, vcc
	global_load_dwordx4 v[12:15], v[16:17], off offset:512
	global_load_dwordx4 v[8:11], v[16:17], off offset:2816
	s_movk_i32 s2, 0x2000
	v_add_co_u32_e32 v34, vcc, s2, v20
	v_mad_u64_u32 v[56:57], s[0:1], s6, v186, 0
	s_nop 0
	v_addc_co_u32_e32 v35, vcc, 0, v21, vcc
	global_load_dwordx4 v[16:19], v[34:35], off offset:1024
	v_mov_b32_e32 v36, v57
	ds_read_b128 v[22:25], v193
	ds_read_b128 v[26:29], v246 offset:2304
	ds_read_b128 v[30:33], v246 offset:4608
	s_movk_i32 s3, 0x3000
	v_mad_u64_u32 v[42:43], s[6:7], s7, v186, v[36:37]
	global_load_dwordx4 v[34:37], v[34:35], off offset:3328
	v_add_co_u32_e32 v60, vcc, s3, v20
	v_mov_b32_e32 v38, v59
	s_nop 0
	v_addc_co_u32_e32 v61, vcc, 0, v21, vcc
	v_mad_u64_u32 v[44:45], s[6:7], s5, v192, v[38:39]
	global_load_dwordx4 v[38:41], v[60:61], off offset:1536
	v_mov_b32_e32 v54, s8
	s_movk_i32 s8, 0x4000
	v_add_co_u32_e32 v62, vcc, s8, v20
	v_mov_b32_e32 v55, s9
	s_movk_i32 s9, 0x5000
	v_addc_co_u32_e32 v63, vcc, 0, v21, vcc
	v_add_co_u32_e32 v64, vcc, s9, v20
	v_mov_b32_e32 v57, v42
	s_nop 0
	v_addc_co_u32_e32 v65, vcc, 0, v21, vcc
	v_mov_b32_e32 v59, v44
	global_load_dwordx4 v[42:45], v[60:61], off offset:3840
	global_load_dwordx4 v[46:49], v[62:63], off offset:2048
	global_load_dwordx4 v[50:53], v[64:65], off offset:256
	s_mov_b32 s0, 0x11811812
	v_lshl_add_u64 v[54:55], v[56:57], 4, v[54:55]
	s_mov_b32 s1, 0x3f418118
	v_mov_b32_e32 v66, 0x900
	v_lshl_add_u64 v[54:55], v[58:59], 4, v[54:55]
	s_mul_i32 s2, s5, 0x900
	v_mad_u64_u32 v[56:57], s[6:7], s4, v66, v[54:55]
	v_add_u32_e32 v57, s2, v57
	v_mad_u64_u32 v[58:59], s[6:7], s4, v66, v[56:57]
	v_add_u32_e32 v59, s2, v59
	s_movk_i32 s3, 0x6000
	v_add_co_u32_e32 v20, vcc, s3, v20
	s_waitcnt vmcnt(9) lgkmcnt(2)
	v_mul_f64 v[60:61], v[24:25], v[2:3]
	v_mul_f64 v[2:3], v[22:23], v[2:3]
	s_waitcnt vmcnt(8) lgkmcnt(1)
	v_mul_f64 v[62:63], v[28:29], v[6:7]
	v_mul_f64 v[6:7], v[26:27], v[6:7]
	v_fmac_f64_e32 v[60:61], v[22:23], v[0:1]
	v_fma_f64 v[2:3], v[0:1], v[24:25], -v[2:3]
	v_fmac_f64_e32 v[62:63], v[26:27], v[4:5]
	v_fma_f64 v[6:7], v[4:5], v[28:29], -v[6:7]
	v_mul_f64 v[0:1], v[60:61], s[0:1]
	v_mul_f64 v[2:3], v[2:3], s[0:1]
	;; [unrolled: 1-line block ×4, first 2 shown]
	global_store_dwordx4 v[54:55], v[0:3], off
	global_store_dwordx4 v[56:57], v[4:7], off
	ds_read_b128 v[4:7], v246 offset:6912
	s_waitcnt vmcnt(9) lgkmcnt(1)
	v_mul_f64 v[0:1], v[32:33], v[14:15]
	v_mul_f64 v[2:3], v[30:31], v[14:15]
	global_load_dwordx4 v[22:25], v[64:65], off offset:2560
	v_fmac_f64_e32 v[0:1], v[30:31], v[12:13]
	v_fma_f64 v[2:3], v[12:13], v[32:33], -v[2:3]
	v_mul_f64 v[0:1], v[0:1], s[0:1]
	v_mul_f64 v[2:3], v[2:3], s[0:1]
	global_store_dwordx4 v[58:59], v[0:3], off
	ds_read_b128 v[0:3], v246 offset:9216
	s_waitcnt vmcnt(10) lgkmcnt(1)
	v_mul_f64 v[12:13], v[6:7], v[10:11]
	v_fmac_f64_e32 v[12:13], v[4:5], v[8:9]
	v_mul_f64 v[4:5], v[4:5], v[10:11]
	v_fma_f64 v[4:5], v[8:9], v[6:7], -v[4:5]
	v_addc_co_u32_e32 v21, vcc, 0, v21, vcc
	v_mul_f64 v[14:15], v[4:5], s[0:1]
	global_load_dwordx4 v[4:7], v[20:21], off offset:768
	s_waitcnt vmcnt(10) lgkmcnt(0)
	v_mul_f64 v[8:9], v[2:3], v[18:19]
	v_fmac_f64_e32 v[8:9], v[0:1], v[16:17]
	v_mul_f64 v[0:1], v[0:1], v[18:19]
	v_mad_u64_u32 v[26:27], s[6:7], s4, v66, v[58:59]
	v_fma_f64 v[0:1], v[16:17], v[2:3], -v[0:1]
	v_add_u32_e32 v27, s2, v27
	v_mul_f64 v[10:11], v[0:1], s[0:1]
	ds_read_b128 v[0:3], v246 offset:11520
	v_mad_u64_u32 v[16:17], s[6:7], s4, v66, v[26:27]
	v_mul_f64 v[12:13], v[12:13], s[0:1]
	v_mul_f64 v[8:9], v[8:9], s[0:1]
	v_add_u32_e32 v17, s2, v17
	global_store_dwordx4 v[26:27], v[12:15], off
	global_store_dwordx4 v[16:17], v[8:11], off
	ds_read_b128 v[8:11], v246 offset:13824
	s_waitcnt vmcnt(11) lgkmcnt(1)
	v_mul_f64 v[12:13], v[2:3], v[36:37]
	v_fmac_f64_e32 v[12:13], v[0:1], v[34:35]
	v_mul_f64 v[0:1], v[0:1], v[36:37]
	v_fma_f64 v[0:1], v[34:35], v[2:3], -v[0:1]
	v_mul_f64 v[14:15], v[0:1], s[0:1]
	v_mad_u64_u32 v[16:17], s[6:7], s4, v66, v[16:17]
	s_waitcnt vmcnt(10) lgkmcnt(0)
	v_mul_f64 v[0:1], v[10:11], v[40:41]
	v_mul_f64 v[2:3], v[8:9], v[40:41]
	;; [unrolled: 1-line block ×3, first 2 shown]
	v_add_u32_e32 v17, s2, v17
	v_fmac_f64_e32 v[0:1], v[8:9], v[38:39]
	v_fma_f64 v[2:3], v[38:39], v[10:11], -v[2:3]
	ds_read_b128 v[8:11], v246 offset:16128
	global_store_dwordx4 v[16:17], v[12:15], off
	v_mad_u64_u32 v[16:17], s[6:7], s4, v66, v[16:17]
	v_mul_f64 v[0:1], v[0:1], s[0:1]
	v_mul_f64 v[2:3], v[2:3], s[0:1]
	v_add_u32_e32 v17, s2, v17
	global_store_dwordx4 v[16:17], v[0:3], off
	ds_read_b128 v[0:3], v246 offset:18432
	s_waitcnt vmcnt(11) lgkmcnt(1)
	v_mul_f64 v[12:13], v[10:11], v[44:45]
	v_fmac_f64_e32 v[12:13], v[8:9], v[42:43]
	v_mul_f64 v[8:9], v[8:9], v[44:45]
	v_fma_f64 v[8:9], v[42:43], v[10:11], -v[8:9]
	v_mul_f64 v[14:15], v[8:9], s[0:1]
	s_waitcnt vmcnt(10) lgkmcnt(0)
	v_mul_f64 v[8:9], v[2:3], v[48:49]
	v_fmac_f64_e32 v[8:9], v[0:1], v[46:47]
	v_mul_f64 v[0:1], v[0:1], v[48:49]
	v_mad_u64_u32 v[16:17], s[6:7], s4, v66, v[16:17]
	v_fma_f64 v[0:1], v[46:47], v[2:3], -v[0:1]
	v_mul_f64 v[12:13], v[12:13], s[0:1]
	v_add_u32_e32 v17, s2, v17
	v_mul_f64 v[10:11], v[0:1], s[0:1]
	ds_read_b128 v[0:3], v246 offset:20736
	global_store_dwordx4 v[16:17], v[12:15], off
	v_mad_u64_u32 v[16:17], s[6:7], s4, v66, v[16:17]
	v_mul_f64 v[8:9], v[8:9], s[0:1]
	v_add_u32_e32 v17, s2, v17
	global_store_dwordx4 v[16:17], v[8:11], off
	ds_read_b128 v[8:11], v246 offset:23040
	s_waitcnt vmcnt(11) lgkmcnt(1)
	v_mul_f64 v[12:13], v[2:3], v[52:53]
	v_fmac_f64_e32 v[12:13], v[0:1], v[50:51]
	v_mul_f64 v[0:1], v[0:1], v[52:53]
	v_fma_f64 v[0:1], v[50:51], v[2:3], -v[0:1]
	v_mul_f64 v[14:15], v[0:1], s[0:1]
	s_waitcnt vmcnt(8) lgkmcnt(0)
	v_mul_f64 v[0:1], v[10:11], v[24:25]
	v_mul_f64 v[2:3], v[8:9], v[24:25]
	v_fmac_f64_e32 v[0:1], v[8:9], v[22:23]
	v_fma_f64 v[2:3], v[22:23], v[10:11], -v[2:3]
	ds_read_b128 v[8:11], v246 offset:25344
	v_mad_u64_u32 v[16:17], s[6:7], s4, v66, v[16:17]
	v_mul_f64 v[12:13], v[12:13], s[0:1]
	v_add_u32_e32 v17, s2, v17
	global_store_dwordx4 v[16:17], v[12:15], off
	v_mad_u64_u32 v[16:17], s[6:7], s4, v66, v[16:17]
	v_mul_f64 v[0:1], v[0:1], s[0:1]
	v_mul_f64 v[2:3], v[2:3], s[0:1]
	v_add_u32_e32 v17, s2, v17
	global_store_dwordx4 v[16:17], v[0:3], off
	ds_read_b128 v[0:3], v246 offset:27648
	s_waitcnt vmcnt(8) lgkmcnt(1)
	v_mul_f64 v[12:13], v[10:11], v[6:7]
	v_mul_f64 v[6:7], v[8:9], v[6:7]
	v_fmac_f64_e32 v[12:13], v[8:9], v[4:5]
	v_fma_f64 v[4:5], v[4:5], v[10:11], -v[6:7]
	v_mad_u64_u32 v[16:17], s[6:7], s4, v66, v[16:17]
	v_mul_f64 v[12:13], v[12:13], s[0:1]
	v_mul_f64 v[14:15], v[4:5], s[0:1]
	v_add_u32_e32 v17, s2, v17
	global_store_dwordx4 v[16:17], v[12:15], off
	global_load_dwordx4 v[4:7], v[20:21], off offset:3072
	s_waitcnt vmcnt(0) lgkmcnt(0)
	v_mul_f64 v[8:9], v[2:3], v[6:7]
	v_fmac_f64_e32 v[8:9], v[0:1], v[4:5]
	v_mul_f64 v[0:1], v[0:1], v[6:7]
	v_fma_f64 v[0:1], v[4:5], v[2:3], -v[0:1]
	v_mul_f64 v[8:9], v[8:9], s[0:1]
	v_mul_f64 v[10:11], v[0:1], s[0:1]
	v_mad_u64_u32 v[0:1], s[0:1], s4, v66, v[16:17]
	v_add_u32_e32 v1, s2, v1
	global_store_dwordx4 v[0:1], v[8:11], off
.LBB0_15:
	s_endpgm
	.section	.rodata,"a",@progbits
	.p2align	6, 0x0
	.amdhsa_kernel bluestein_single_back_len1872_dim1_dp_op_CI_CI
		.amdhsa_group_segment_fixed_size 29952
		.amdhsa_private_segment_fixed_size 0
		.amdhsa_kernarg_size 104
		.amdhsa_user_sgpr_count 2
		.amdhsa_user_sgpr_dispatch_ptr 0
		.amdhsa_user_sgpr_queue_ptr 0
		.amdhsa_user_sgpr_kernarg_segment_ptr 1
		.amdhsa_user_sgpr_dispatch_id 0
		.amdhsa_user_sgpr_kernarg_preload_length 0
		.amdhsa_user_sgpr_kernarg_preload_offset 0
		.amdhsa_user_sgpr_private_segment_size 0
		.amdhsa_uses_dynamic_stack 0
		.amdhsa_enable_private_segment 0
		.amdhsa_system_sgpr_workgroup_id_x 1
		.amdhsa_system_sgpr_workgroup_id_y 0
		.amdhsa_system_sgpr_workgroup_id_z 0
		.amdhsa_system_sgpr_workgroup_info 0
		.amdhsa_system_vgpr_workitem_id 0
		.amdhsa_next_free_vgpr 295
		.amdhsa_next_free_sgpr 50
		.amdhsa_accum_offset 256
		.amdhsa_reserve_vcc 1
		.amdhsa_float_round_mode_32 0
		.amdhsa_float_round_mode_16_64 0
		.amdhsa_float_denorm_mode_32 3
		.amdhsa_float_denorm_mode_16_64 3
		.amdhsa_dx10_clamp 1
		.amdhsa_ieee_mode 1
		.amdhsa_fp16_overflow 0
		.amdhsa_tg_split 0
		.amdhsa_exception_fp_ieee_invalid_op 0
		.amdhsa_exception_fp_denorm_src 0
		.amdhsa_exception_fp_ieee_div_zero 0
		.amdhsa_exception_fp_ieee_overflow 0
		.amdhsa_exception_fp_ieee_underflow 0
		.amdhsa_exception_fp_ieee_inexact 0
		.amdhsa_exception_int_div_zero 0
	.end_amdhsa_kernel
	.text
.Lfunc_end0:
	.size	bluestein_single_back_len1872_dim1_dp_op_CI_CI, .Lfunc_end0-bluestein_single_back_len1872_dim1_dp_op_CI_CI
                                        ; -- End function
	.section	.AMDGPU.csdata,"",@progbits
; Kernel info:
; codeLenInByte = 19248
; NumSgprs: 56
; NumVgprs: 256
; NumAgprs: 39
; TotalNumVgprs: 295
; ScratchSize: 0
; MemoryBound: 0
; FloatMode: 240
; IeeeMode: 1
; LDSByteSize: 29952 bytes/workgroup (compile time only)
; SGPRBlocks: 6
; VGPRBlocks: 36
; NumSGPRsForWavesPerEU: 56
; NumVGPRsForWavesPerEU: 295
; AccumOffset: 256
; Occupancy: 1
; WaveLimiterHint : 1
; COMPUTE_PGM_RSRC2:SCRATCH_EN: 0
; COMPUTE_PGM_RSRC2:USER_SGPR: 2
; COMPUTE_PGM_RSRC2:TRAP_HANDLER: 0
; COMPUTE_PGM_RSRC2:TGID_X_EN: 1
; COMPUTE_PGM_RSRC2:TGID_Y_EN: 0
; COMPUTE_PGM_RSRC2:TGID_Z_EN: 0
; COMPUTE_PGM_RSRC2:TIDIG_COMP_CNT: 0
; COMPUTE_PGM_RSRC3_GFX90A:ACCUM_OFFSET: 63
; COMPUTE_PGM_RSRC3_GFX90A:TG_SPLIT: 0
	.text
	.p2alignl 6, 3212836864
	.fill 256, 4, 3212836864
	.type	__hip_cuid_580dcbb2f4bfe534,@object ; @__hip_cuid_580dcbb2f4bfe534
	.section	.bss,"aw",@nobits
	.globl	__hip_cuid_580dcbb2f4bfe534
__hip_cuid_580dcbb2f4bfe534:
	.byte	0                               ; 0x0
	.size	__hip_cuid_580dcbb2f4bfe534, 1

	.ident	"AMD clang version 19.0.0git (https://github.com/RadeonOpenCompute/llvm-project roc-6.4.0 25133 c7fe45cf4b819c5991fe208aaa96edf142730f1d)"
	.section	".note.GNU-stack","",@progbits
	.addrsig
	.addrsig_sym __hip_cuid_580dcbb2f4bfe534
	.amdgpu_metadata
---
amdhsa.kernels:
  - .agpr_count:     39
    .args:
      - .actual_access:  read_only
        .address_space:  global
        .offset:         0
        .size:           8
        .value_kind:     global_buffer
      - .actual_access:  read_only
        .address_space:  global
        .offset:         8
        .size:           8
        .value_kind:     global_buffer
      - .actual_access:  read_only
        .address_space:  global
        .offset:         16
        .size:           8
        .value_kind:     global_buffer
      - .actual_access:  read_only
        .address_space:  global
        .offset:         24
        .size:           8
        .value_kind:     global_buffer
      - .actual_access:  read_only
        .address_space:  global
        .offset:         32
        .size:           8
        .value_kind:     global_buffer
      - .offset:         40
        .size:           8
        .value_kind:     by_value
      - .address_space:  global
        .offset:         48
        .size:           8
        .value_kind:     global_buffer
      - .address_space:  global
        .offset:         56
        .size:           8
        .value_kind:     global_buffer
      - .address_space:  global
        .offset:         64
        .size:           8
        .value_kind:     global_buffer
      - .address_space:  global
        .offset:         72
        .size:           8
        .value_kind:     global_buffer
      - .offset:         80
        .size:           4
        .value_kind:     by_value
      - .address_space:  global
        .offset:         88
        .size:           8
        .value_kind:     global_buffer
      - .address_space:  global
        .offset:         96
        .size:           8
        .value_kind:     global_buffer
    .group_segment_fixed_size: 29952
    .kernarg_segment_align: 8
    .kernarg_segment_size: 104
    .language:       OpenCL C
    .language_version:
      - 2
      - 0
    .max_flat_workgroup_size: 156
    .name:           bluestein_single_back_len1872_dim1_dp_op_CI_CI
    .private_segment_fixed_size: 0
    .sgpr_count:     56
    .sgpr_spill_count: 0
    .symbol:         bluestein_single_back_len1872_dim1_dp_op_CI_CI.kd
    .uniform_work_group_size: 1
    .uses_dynamic_stack: false
    .vgpr_count:     295
    .vgpr_spill_count: 0
    .wavefront_size: 64
amdhsa.target:   amdgcn-amd-amdhsa--gfx950
amdhsa.version:
  - 1
  - 2
...

	.end_amdgpu_metadata
